;; amdgpu-corpus repo=GPUOpen-LibrariesAndSDKs/Orochi kind=compiled arch=gfx90a opt=O3
	.text
	.amdgcn_target "amdgcn-amd-amdhsa--gfx90a"
	.amdhsa_code_object_version 6
	.protected	SortSinglePassKernel    ; -- Begin function SortSinglePassKernel
	.globl	SortSinglePassKernel
	.p2align	8
	.type	SortSinglePassKernel,@function
SortSinglePassKernel:                   ; @SortSinglePassKernel
; %bb.0:
	s_mov_b64 s[78:79], s[2:3]
	s_mov_b64 s[76:77], s[0:1]
	s_add_u32 s76, s76, s7
	s_addc_u32 s77, s77, 0
	s_cmp_lg_u32 s6, 0
	s_cbranch_scc0 .LBB0_2
.LBB0_1:
	s_endpgm
.LBB0_2:
	s_load_dwordx8 s[64:71], s[4:5], 0x0
	v_mul_u32_u24_e32 v1, 24, v0
	v_mov_b32_e32 v23, -1
	v_lshlrev_b32_e32 v13, 2, v1
	v_mov_b32_e32 v22, -1
	s_waitcnt lgkmcnt(0)
	v_cmp_gt_i32_e32 vcc, s68, v1
	s_and_saveexec_b64 s[0:1], vcc
	s_cbranch_execz .LBB0_4
; %bb.3:
	global_load_dword v22, v13, s[64:65]
.LBB0_4:
	s_or_b64 exec, exec, s[0:1]
	v_or_b32_e32 v2, 1, v1
	v_cmp_gt_i32_e64 s[0:1], s68, v2
	s_waitcnt vmcnt(0)
	ds_write_b32 v13, v22
	s_and_saveexec_b64 s[2:3], s[0:1]
	s_cbranch_execz .LBB0_6
; %bb.5:
	global_load_dword v23, v13, s[64:65] offset:4
.LBB0_6:
	s_or_b64 exec, exec, s[2:3]
	v_or_b32_e32 v2, 2, v1
	v_cmp_gt_i32_e64 s[2:3], s68, v2
	v_mov_b32_e32 v25, -1
	v_mov_b32_e32 v24, -1
	s_waitcnt vmcnt(0)
	ds_write_b32 v13, v23 offset:4
	s_and_saveexec_b64 s[4:5], s[2:3]
	s_cbranch_execz .LBB0_8
; %bb.7:
	global_load_dword v24, v13, s[64:65] offset:8
.LBB0_8:
	s_or_b64 exec, exec, s[4:5]
	v_or_b32_e32 v2, 3, v1
	v_cmp_gt_i32_e64 s[4:5], s68, v2
	s_waitcnt vmcnt(0)
	ds_write_b32 v13, v24 offset:8
	s_and_saveexec_b64 s[6:7], s[4:5]
	s_cbranch_execz .LBB0_10
; %bb.9:
	global_load_dword v25, v13, s[64:65] offset:12
.LBB0_10:
	s_or_b64 exec, exec, s[6:7]
	v_or_b32_e32 v2, 4, v1
	v_cmp_gt_i32_e64 s[6:7], s68, v2
	v_mov_b32_e32 v19, -1
	v_mov_b32_e32 v18, -1
	s_waitcnt vmcnt(0)
	ds_write_b32 v13, v25 offset:12
	s_and_saveexec_b64 s[8:9], s[6:7]
	s_cbranch_execz .LBB0_12
; %bb.11:
	global_load_dword v18, v13, s[64:65] offset:16
.LBB0_12:
	s_or_b64 exec, exec, s[8:9]
	v_or_b32_e32 v2, 5, v1
	v_cmp_gt_i32_e64 s[8:9], s68, v2
	s_waitcnt vmcnt(0)
	ds_write_b32 v13, v18 offset:16
	s_and_saveexec_b64 s[10:11], s[8:9]
	s_cbranch_execz .LBB0_14
; %bb.13:
	global_load_dword v19, v13, s[64:65] offset:20
.LBB0_14:
	s_or_b64 exec, exec, s[10:11]
	v_or_b32_e32 v2, 6, v1
	v_cmp_gt_i32_e64 s[10:11], s68, v2
	v_mov_b32_e32 v21, -1
	v_mov_b32_e32 v20, -1
	s_waitcnt vmcnt(0)
	ds_write_b32 v13, v19 offset:20
	s_and_saveexec_b64 s[12:13], s[10:11]
	s_cbranch_execz .LBB0_16
; %bb.15:
	global_load_dword v20, v13, s[64:65] offset:24
.LBB0_16:
	s_or_b64 exec, exec, s[12:13]
	v_or_b32_e32 v2, 7, v1
	v_cmp_gt_i32_e64 s[12:13], s68, v2
	s_waitcnt vmcnt(0)
	ds_write_b32 v13, v20 offset:24
	s_and_saveexec_b64 s[14:15], s[12:13]
	s_cbranch_execz .LBB0_18
; %bb.17:
	global_load_dword v21, v13, s[64:65] offset:28
.LBB0_18:
	s_or_b64 exec, exec, s[14:15]
	v_add_u32_e32 v2, 8, v1
	v_cmp_gt_i32_e64 s[14:15], s68, v2
	v_mov_b32_e32 v15, -1
	v_mov_b32_e32 v14, -1
	s_waitcnt vmcnt(0)
	ds_write_b32 v13, v21 offset:28
	s_and_saveexec_b64 s[16:17], s[14:15]
	s_cbranch_execz .LBB0_20
; %bb.19:
	global_load_dword v14, v13, s[64:65] offset:32
.LBB0_20:
	s_or_b64 exec, exec, s[16:17]
	v_add_u32_e32 v2, 9, v1
	v_cmp_gt_i32_e64 s[16:17], s68, v2
	s_waitcnt vmcnt(0)
	ds_write_b32 v13, v14 offset:32
	s_and_saveexec_b64 s[18:19], s[16:17]
	s_cbranch_execz .LBB0_22
; %bb.21:
	global_load_dword v15, v13, s[64:65] offset:36
.LBB0_22:
	s_or_b64 exec, exec, s[18:19]
	v_add_u32_e32 v2, 10, v1
	v_cmp_gt_i32_e64 s[18:19], s68, v2
	v_mov_b32_e32 v17, -1
	v_mov_b32_e32 v16, -1
	s_waitcnt vmcnt(0)
	ds_write_b32 v13, v15 offset:36
	s_and_saveexec_b64 s[20:21], s[18:19]
	s_cbranch_execz .LBB0_24
; %bb.23:
	global_load_dword v16, v13, s[64:65] offset:40
.LBB0_24:
	s_or_b64 exec, exec, s[20:21]
	v_add_u32_e32 v2, 11, v1
	v_cmp_gt_i32_e64 s[20:21], s68, v2
	s_waitcnt vmcnt(0)
	ds_write_b32 v13, v16 offset:40
	;; [unrolled: 22-line block ×7, first 2 shown]
	s_and_saveexec_b64 s[44:45], s[42:43]
	s_cbranch_execz .LBB0_46
; %bb.45:
	global_load_dword v11, v13, s[64:65] offset:84
.LBB0_46:
	s_or_b64 exec, exec, s[44:45]
	v_add_u32_e32 v12, 22, v1
	s_waitcnt vmcnt(0)
	ds_write_b32 v13, v11 offset:84
	v_cmp_gt_i32_e64 s[44:45], s68, v12
	v_mov_b32_e32 v26, v13
	v_mov_b32_e32 v13, -1
	v_mov_b32_e32 v12, -1
	s_and_saveexec_b64 s[46:47], s[44:45]
	s_cbranch_execz .LBB0_48
; %bb.47:
	global_load_dword v12, v26, s[64:65] offset:88
.LBB0_48:
	s_or_b64 exec, exec, s[46:47]
	v_add_u32_e32 v1, 23, v1
	v_cmp_gt_i32_e64 s[46:47], s68, v1
	s_waitcnt vmcnt(0)
	ds_write_b32 v26, v12 offset:88
	s_and_saveexec_b64 s[48:49], s[46:47]
	s_cbranch_execz .LBB0_50
; %bb.49:
	global_load_dword v13, v26, s[64:65] offset:92
.LBB0_50:
	s_or_b64 exec, exec, s[48:49]
	s_cmp_lt_i32 s69, s70
	buffer_store_dword v26, off, s[76:79], 0 offset:24 ; 4-byte Folded Spill
	s_waitcnt vmcnt(1)
	ds_write_b32 v26, v13 offset:92
	s_waitcnt lgkmcnt(0)
	s_barrier
	s_cbranch_scc0 .LBB0_325
; %bb.51:
	v_lshlrev_b32_e32 v26, 1, v0
	v_or_b32_e32 v27, 1, v26
	s_mov_b32 s64, 0
	v_mov_b32_e32 v1, 0x3000
	v_add_u32_e32 v26, 2, v26
	v_lshlrev_b32_e32 v36, 4, v27
	v_lshlrev_b32_e32 v38, 5, v27
	;; [unrolled: 1-line block ×7, first 2 shown]
	s_mov_b32 s65, s64
	v_lshl_add_u32 v33, v0, 5, v1
	v_lshlrev_b32_e32 v1, 3, v0
	v_lshlrev_b32_e32 v35, 4, v26
	;; [unrolled: 1-line block ×7, first 2 shown]
	buffer_store_dword v27, off, s[76:79], 0 ; 4-byte Folded Spill
	v_lshlrev_b32_e32 v52, 3, v26
	v_pk_mov_b32 v[26:27], s[64:65], s[64:65] op_sel:[0,1]
	v_add_u32_e32 v34, 0x4020, v1
	v_mul_i32_i24_e32 v28, 0xffffffe4, v0
	v_mov_b32_e32 v29, 0x4000
	s_mov_b32 s72, s64
	s_mov_b32 s73, s64
	buffer_store_dword v26, off, s[76:79], 0 offset:8 ; 4-byte Folded Spill
	s_nop 0
	buffer_store_dword v27, off, s[76:79], 0 offset:12 ; 4-byte Folded Spill
	v_cmp_gt_u32_e64 s[48:49], 64, v0
	v_cmp_gt_u32_e64 s[50:51], 32, v0
	;; [unrolled: 1-line block ×6, first 2 shown]
	v_cmp_eq_u32_e64 s[60:61], 0, v0
	v_lshl_or_b32 v45, v0, 2, v29
	v_mul_u32_u24_e32 v50, 0x60, v0
	v_pk_mov_b32 v[26:27], s[72:73], s[72:73] op_sel:[0,1]
	v_mov_b32_e32 v30, 0
	v_add_u32_e32 v51, v34, v1
	v_add_u32_e32 v0, v33, v28
	v_mov_b32_e32 v53, 2
	buffer_store_dword v26, off, s[76:79], 0 offset:16 ; 4-byte Folded Spill
	s_nop 0
	buffer_store_dword v27, off, s[76:79], 0 offset:20 ; 4-byte Folded Spill
	buffer_store_dword v0, off, s[76:79], 0 offset:4 ; 4-byte Folded Spill
	s_branch .LBB0_53
.LBB0_52:                               ;   in Loop: Header=BB0_53 Depth=1
	s_or_b64 exec, exec, s[62:63]
	s_waitcnt lgkmcnt(0)
	s_barrier
	s_barrier
	;; [unrolled: 1-line block ×3, first 2 shown]
	ds_read_u16 v24, v122
	v_lshl_or_b32 v25, v118, 3, v125
	ds_read_u16 v25, v25 offset:16384
	v_lshl_or_b32 v27, v113, 3, v123
	v_lshl_or_b32 v29, v109, 3, v121
	s_waitcnt lgkmcnt(1)
	v_add_u16_e32 v26, 1, v24
	ds_write_b16 v122, v26
	ds_read_u16 v26, v119
	ds_read_u16 v27, v27 offset:16384
	v_lshl_or_b32 v46, v105, 3, v116
	v_lshl_or_b32 v48, v103, 3, v111
	;; [unrolled: 1-line block ×3, first 2 shown]
	s_waitcnt lgkmcnt(1)
	v_add_u16_e32 v28, 1, v26
	ds_write_b16 v119, v28
	ds_read_u16 v28, v114
	ds_read_u16 v29, v29 offset:16384
	v_lshl_or_b32 v102, v107, 3, v117
	v_lshlrev_b32_sdwa v24, v53, v24 dst_sel:DWORD dst_unused:UNUSED_PAD src0_sel:DWORD src1_sel:WORD_0
	v_lshl_add_u32 v24, v25, 2, v24
	s_waitcnt lgkmcnt(1)
	v_add_u16_e32 v31, 1, v28
	ds_write_b16 v114, v31
	ds_read_u16 v31, v110
	ds_read_u16 v46, v46 offset:16384
	v_lshl_or_b32 v105, v120, 3, v126
	s_add_i32 s69, s33, 4
	s_cmp_ge_i32 s69, s70
	s_waitcnt lgkmcnt(1)
	v_add_u16_e32 v47, 1, v31
	ds_write_b16 v110, v47
	ds_read_u16 v47, v106
	ds_read_u16 v48, v48 offset:16384
	s_waitcnt lgkmcnt(1)
	v_add_u16_e32 v49, 1, v47
	ds_write_b16 v106, v49
	ds_read_u16 v49, v101
	ds_read_u16 v54, v54 offset:16384
	s_waitcnt lgkmcnt(1)
	v_add_u16_e32 v103, 1, v49
	ds_write_b16 v101, v103
	ds_read_u16 v101, v102 offset:16384
	ds_read_u16 v102, v90
	v_lshl_or_b32 v103, v104, 3, v112
	v_lshl_or_b32 v104, v115, 3, v124
	s_waitcnt lgkmcnt(0)
	v_add_u16_e32 v106, 1, v102
	ds_write_b16 v90, v106
	ds_read_u16 v90, v103 offset:16384
	ds_read_u16 v103, v92
	ds_write_b32 v24, v12
	v_lshlrev_b32_sdwa v12, v53, v26 dst_sel:DWORD dst_unused:UNUSED_PAD src0_sel:DWORD src1_sel:WORD_0
	v_lshl_add_u32 v12, v27, 2, v12
	s_waitcnt lgkmcnt(1)
	v_add_u16_e32 v24, 1, v103
	ds_write_b16 v92, v24
	ds_read_u16 v24, v104 offset:16384
	ds_read_u16 v25, v96
	ds_write_b32 v12, v13
	v_lshlrev_b32_sdwa v12, v53, v28 dst_sel:DWORD dst_unused:UNUSED_PAD src0_sel:DWORD src1_sel:WORD_0
	v_lshl_add_u32 v12, v29, 2, v12
	ds_write_b32 v12, v14
	s_waitcnt lgkmcnt(2)
	v_add_u16_e32 v12, 1, v25
	ds_write_b16 v96, v12
	ds_read_u16 v12, v105 offset:16384
	ds_read_u16 v13, v97
	v_lshlrev_b32_sdwa v14, v53, v31 dst_sel:DWORD dst_unused:UNUSED_PAD src0_sel:DWORD src1_sel:WORD_0
	v_lshl_add_u32 v14, v46, 2, v14
	ds_write_b32 v14, v15
	v_lshlrev_b32_sdwa v14, v53, v47 dst_sel:DWORD dst_unused:UNUSED_PAD src0_sel:DWORD src1_sel:WORD_0
	s_waitcnt lgkmcnt(1)
	v_add_u16_e32 v15, 1, v13
	ds_write_b16 v97, v15
	v_lshl_or_b32 v15, v99, 3, v100
	ds_read_u16 v15, v15 offset:16384
	ds_read_u16 v26, v93
	v_lshl_add_u32 v14, v48, 2, v14
	ds_write_b32 v14, v0
	v_lshlrev_b32_sdwa v0, v53, v49 dst_sel:DWORD dst_unused:UNUSED_PAD src0_sel:DWORD src1_sel:WORD_0
	v_lshl_add_u32 v0, v54, 2, v0
	s_waitcnt lgkmcnt(1)
	v_add_u16_e32 v14, 1, v26
	ds_write_b16 v93, v14
	v_lshl_or_b32 v14, v95, 3, v98
	ds_read_u16 v14, v14 offset:16384
	ds_read_u16 v27, v88
	ds_write_b32 v0, v1
	v_lshlrev_b32_sdwa v0, v53, v102 dst_sel:DWORD dst_unused:UNUSED_PAD src0_sel:DWORD src1_sel:WORD_0
	v_lshl_add_u32 v0, v101, 2, v0
	ds_write_b32 v0, v2
	s_waitcnt lgkmcnt(2)
	v_add_u16_e32 v0, 1, v27
	ds_write_b16 v88, v0
	v_lshl_or_b32 v0, v91, 3, v94
	ds_read_u16 v0, v0 offset:16384
	ds_read_u16 v1, v85
	v_lshlrev_b32_sdwa v2, v53, v103 dst_sel:DWORD dst_unused:UNUSED_PAD src0_sel:DWORD src1_sel:WORD_0
	v_lshl_add_u32 v2, v90, 2, v2
	ds_write_b32 v2, v3
	v_lshlrev_b32_sdwa v2, v53, v25 dst_sel:DWORD dst_unused:UNUSED_PAD src0_sel:DWORD src1_sel:WORD_0
	s_waitcnt lgkmcnt(1)
	v_add_u16_e32 v3, 1, v1
	ds_write_b16 v85, v3
	v_lshl_or_b32 v3, v87, 3, v89
	ds_read_u16 v3, v3 offset:16384
	ds_read_u16 v25, v82
	v_lshl_add_u32 v2, v24, 2, v2
	ds_write_b32 v2, v16
	v_lshlrev_b32_sdwa v2, v53, v13 dst_sel:DWORD dst_unused:UNUSED_PAD src0_sel:DWORD src1_sel:WORD_0
	v_lshl_add_u32 v2, v12, 2, v2
	s_waitcnt lgkmcnt(1)
	v_add_u16_e32 v12, 1, v25
	ds_write_b16 v82, v12
	v_lshl_or_b32 v12, v84, 3, v86
	ds_read_u16 v12, v12 offset:16384
	ds_read_u16 v13, v78
	ds_write_b32 v2, v17
	v_lshlrev_b32_sdwa v2, v53, v26 dst_sel:DWORD dst_unused:UNUSED_PAD src0_sel:DWORD src1_sel:WORD_0
	v_lshl_add_u32 v2, v15, 2, v2
	ds_write_b32 v2, v18
	s_waitcnt lgkmcnt(2)
	v_add_u16_e32 v2, 1, v13
	ds_write_b16 v78, v2
	v_lshl_or_b32 v2, v80, 3, v83
	;; [unrolled: 30-line block ×4, first 2 shown]
	ds_read_u16 v0, v0 offset:16384
	ds_read_u16 v1, v58
	v_lshlrev_b32_sdwa v4, v53, v6 dst_sel:DWORD dst_unused:UNUSED_PAD src0_sel:DWORD src1_sel:WORD_0
	v_lshl_add_u32 v4, v5, 2, v4
	ds_write_b32 v4, v23
	v_lshlrev_b32_sdwa v3, v53, v3 dst_sel:DWORD dst_unused:UNUSED_PAD src0_sel:DWORD src1_sel:WORD_0
	s_waitcnt lgkmcnt(1)
	v_add_u16_e32 v4, 1, v1
	ds_write_b16 v58, v4
	v_lshl_or_b32 v4, v60, 3, v62
	ds_read_u16 v4, v4 offset:16384
	ds_read_u16 v5, v56
	v_lshlrev_b32_sdwa v1, v53, v1 dst_sel:DWORD dst_unused:UNUSED_PAD src0_sel:DWORD src1_sel:WORD_0
	v_lshl_add_u32 v2, v2, 2, v3
	v_lshl_add_u32 v0, v0, 2, v1
	ds_write_b32 v2, v8
	s_waitcnt lgkmcnt(1)
	v_add_u16_e32 v1, 1, v5
	ds_write_b16 v56, v1
	v_lshl_or_b32 v1, v57, 3, v59
	ds_read_u16 v1, v1 offset:16384
	ds_read_u16 v2, v55
	ds_write_b32 v0, v9
	v_lshlrev_b32_sdwa v0, v53, v5 dst_sel:DWORD dst_unused:UNUSED_PAD src0_sel:DWORD src1_sel:WORD_0
	v_lshl_add_u32 v0, v4, 2, v0
	ds_write_b32 v0, v10
	s_waitcnt lgkmcnt(2)
	v_add_u16_e32 v0, 1, v2
	ds_write_b16 v55, v0
	v_lshlrev_b32_sdwa v0, v53, v2 dst_sel:DWORD dst_unused:UNUSED_PAD src0_sel:DWORD src1_sel:WORD_0
	v_lshl_add_u32 v0, v1, 2, v0
	ds_write_b32 v0, v11
	s_waitcnt lgkmcnt(0)
	s_barrier
	ds_read_b128 v[22:25], v50
	ds_read_b128 v[18:21], v50 offset:16
	ds_read_b128 v[14:17], v50 offset:32
	ds_read_b128 v[2:5], v50 offset:48
	ds_read_b128 v[6:9], v50 offset:64
	ds_read_b128 v[10:13], v50 offset:80
	s_cbranch_scc1 .LBB0_325
.LBB0_53:                               ; =>This Inner Loop Header: Depth=1
	buffer_load_dword v0, off, s[76:79], 0 offset:8 ; 4-byte Folded Reload
	buffer_load_dword v1, off, s[76:79], 0 offset:12 ; 4-byte Folded Reload
	;; [unrolled: 1-line block ×4, first 2 shown]
	s_waitcnt vmcnt(0)
	ds_write2_b64 v33, v[0:1], v[26:27] offset1:1
	ds_write2_b64 v33, v[0:1], v[26:27] offset0:2 offset1:3
	s_waitcnt lgkmcnt(7)
	v_ashrrev_i32_e32 v0, s69, v22
	v_bfe_u32 v120, v0, 2, 2
	v_and_b32_e32 v0, 3, v0
	v_lshlrev_b32_e32 v126, 1, v0
	v_lshlrev_b32_e32 v0, 3, v120
	v_or3_b32 v124, v33, v0, v126
	ds_read_u16 v0, v124
	s_waitcnt lgkmcnt(0)
	v_add_u16_e32 v0, 1, v0
	ds_write_b16 v124, v0
	v_ashrrev_i32_e32 v0, s69, v23
	v_bfe_u32 v115, v0, 2, 2
	v_and_b32_e32 v0, 3, v0
	v_lshlrev_b32_e32 v125, 1, v0
	v_lshlrev_b32_e32 v0, 3, v115
	v_or3_b32 v121, v33, v0, v125
	ds_read_u16 v0, v121
	s_waitcnt lgkmcnt(0)
	v_add_u16_e32 v0, 1, v0
	ds_write_b16 v121, v0
	;; [unrolled: 10-line block ×24, first 2 shown]
	s_waitcnt lgkmcnt(0)
	s_barrier
	ds_read_b64 v[0:1], v33
	s_waitcnt lgkmcnt(0)
	ds_write_b64 v34, v[0:1]
	s_waitcnt lgkmcnt(0)
	s_barrier
	s_and_saveexec_b64 s[74:75], s[48:49]
	s_cbranch_execz .LBB0_55
; %bb.54:                               ;   in Loop: Header=BB0_53 Depth=1
	ds_read_b128 v[46:49], v51
	s_waitcnt lgkmcnt(0)
	v_add_co_u32_e64 v0, s[62:63], v48, v46
	v_addc_co_u32_e64 v1, s[62:63], v49, v47, s[62:63]
	ds_write_b64 v51, v[0:1] offset:8
.LBB0_55:                               ;   in Loop: Header=BB0_53 Depth=1
	s_or_b64 exec, exec, s[74:75]
	s_waitcnt lgkmcnt(0)
	s_barrier
	s_and_saveexec_b64 s[74:75], s[50:51]
	s_cbranch_execz .LBB0_57
; %bb.56:                               ;   in Loop: Header=BB0_53 Depth=1
	ds_read_b64 v[0:1], v36 offset:16408
	ds_read_b64 v[26:27], v35 offset:16408
	s_waitcnt lgkmcnt(0)
	v_add_co_u32_e64 v0, s[62:63], v26, v0
	v_addc_co_u32_e64 v1, s[62:63], v27, v1, s[62:63]
	ds_write_b64 v35, v[0:1] offset:16408
.LBB0_57:                               ;   in Loop: Header=BB0_53 Depth=1
	s_or_b64 exec, exec, s[74:75]
	s_waitcnt lgkmcnt(0)
	s_barrier
	s_and_saveexec_b64 s[74:75], s[52:53]
	s_cbranch_execz .LBB0_59
; %bb.58:                               ;   in Loop: Header=BB0_53 Depth=1
	ds_read_b64 v[0:1], v38 offset:16408
	ds_read_b64 v[26:27], v37 offset:16408
	s_waitcnt lgkmcnt(0)
	v_add_co_u32_e64 v0, s[62:63], v26, v0
	v_addc_co_u32_e64 v1, s[62:63], v27, v1, s[62:63]
	ds_write_b64 v37, v[0:1] offset:16408
.LBB0_59:                               ;   in Loop: Header=BB0_53 Depth=1
	s_or_b64 exec, exec, s[74:75]
	s_waitcnt lgkmcnt(0)
	s_barrier
	s_and_saveexec_b64 s[74:75], s[54:55]
	s_cbranch_execz .LBB0_61
; %bb.60:                               ;   in Loop: Header=BB0_53 Depth=1
	ds_read_b64 v[0:1], v40 offset:16408
	ds_read_b64 v[26:27], v39 offset:16408
	s_waitcnt lgkmcnt(0)
	v_add_co_u32_e64 v0, s[62:63], v26, v0
	v_addc_co_u32_e64 v1, s[62:63], v27, v1, s[62:63]
	ds_write_b64 v39, v[0:1] offset:16408
.LBB0_61:                               ;   in Loop: Header=BB0_53 Depth=1
	s_or_b64 exec, exec, s[74:75]
	s_waitcnt lgkmcnt(0)
	s_barrier
	s_and_saveexec_b64 s[74:75], s[56:57]
	s_cbranch_execz .LBB0_63
; %bb.62:                               ;   in Loop: Header=BB0_53 Depth=1
	ds_read_b64 v[0:1], v42 offset:16408
	ds_read_b64 v[26:27], v41 offset:16408
	s_waitcnt lgkmcnt(0)
	v_add_co_u32_e64 v0, s[62:63], v26, v0
	v_addc_co_u32_e64 v1, s[62:63], v27, v1, s[62:63]
	ds_write_b64 v41, v[0:1] offset:16408
.LBB0_63:                               ;   in Loop: Header=BB0_53 Depth=1
	s_or_b64 exec, exec, s[74:75]
	s_waitcnt lgkmcnt(0)
	s_barrier
	s_and_saveexec_b64 s[74:75], s[58:59]
	s_cbranch_execz .LBB0_65
; %bb.64:                               ;   in Loop: Header=BB0_53 Depth=1
	ds_read_b64 v[0:1], v44 offset:16408
	ds_read_b64 v[26:27], v43 offset:16408
	s_waitcnt lgkmcnt(0)
	v_add_co_u32_e64 v0, s[62:63], v26, v0
	v_addc_co_u32_e64 v1, s[62:63], v27, v1, s[62:63]
	ds_write_b64 v43, v[0:1] offset:16408
.LBB0_65:                               ;   in Loop: Header=BB0_53 Depth=1
	s_or_b64 exec, exec, s[74:75]
	v_add_u32_e64 v54, 24, 0
	s_waitcnt lgkmcnt(0)
	s_barrier
	s_and_saveexec_b64 s[74:75], s[60:61]
	s_cbranch_execz .LBB0_67
; %bb.66:                               ;   in Loop: Header=BB0_53 Depth=1
	ds_read2st64_b64 v[46:49], v54 offset0:33 offset1:34
	s_waitcnt lgkmcnt(0)
	v_add_co_u32_e64 v0, s[62:63], v48, v46
	v_addc_co_u32_e64 v1, s[62:63], v49, v47, s[62:63]
	ds_write_b64 v30, v[0:1] offset:17432
.LBB0_67:                               ;   in Loop: Header=BB0_53 Depth=1
	s_or_b64 exec, exec, s[74:75]
	s_waitcnt lgkmcnt(0)
	s_barrier
	s_barrier
	s_and_saveexec_b64 s[74:75], s[60:61]
	s_cbranch_execz .LBB0_69
; %bb.68:                               ;   in Loop: Header=BB0_53 Depth=1
	ds_read_b64 v[0:1], v30 offset:17432
	v_mov_b32_e32 v31, v30
	s_waitcnt lgkmcnt(0)
	ds_write_b64 v30, v[0:1] offset:17440
	s_waitcnt lgkmcnt(0)
	ds_write_b64 v30, v[30:31] offset:17432
	s_waitcnt lgkmcnt(0)
	ds_read2st64_b64 v[46:49], v54 offset0:33 offset1:34
	s_waitcnt lgkmcnt(0)
	v_add_co_u32_e64 v0, s[62:63], v48, v46
	v_addc_co_u32_e64 v1, s[62:63], v49, v47, s[62:63]
	ds_write2st64_b64 v54, v[48:49], v[0:1] offset0:33 offset1:34
.LBB0_69:                               ;   in Loop: Header=BB0_53 Depth=1
	s_or_b64 exec, exec, s[74:75]
	s_waitcnt lgkmcnt(0)
	s_barrier
	s_and_saveexec_b64 s[74:75], s[58:59]
	s_cbranch_execz .LBB0_71
; %bb.70:                               ;   in Loop: Header=BB0_53 Depth=1
	ds_read_b64 v[0:1], v43 offset:16408
	ds_read_b64 v[26:27], v44 offset:16408
	s_waitcnt lgkmcnt(1)
	ds_write_b64 v44, v[0:1] offset:16408
	s_waitcnt lgkmcnt(1)
	v_add_co_u32_e64 v0, s[62:63], v0, v26
	v_addc_co_u32_e64 v1, s[62:63], v1, v27, s[62:63]
	ds_write_b64 v43, v[0:1] offset:16408
.LBB0_71:                               ;   in Loop: Header=BB0_53 Depth=1
	s_or_b64 exec, exec, s[74:75]
	s_waitcnt lgkmcnt(0)
	s_barrier
	s_and_saveexec_b64 s[74:75], s[56:57]
	s_cbranch_execz .LBB0_73
; %bb.72:                               ;   in Loop: Header=BB0_53 Depth=1
	ds_read_b64 v[0:1], v41 offset:16408
	ds_read_b64 v[26:27], v42 offset:16408
	s_waitcnt lgkmcnt(1)
	ds_write_b64 v42, v[0:1] offset:16408
	s_waitcnt lgkmcnt(1)
	v_add_co_u32_e64 v0, s[62:63], v0, v26
	v_addc_co_u32_e64 v1, s[62:63], v1, v27, s[62:63]
	ds_write_b64 v41, v[0:1] offset:16408
.LBB0_73:                               ;   in Loop: Header=BB0_53 Depth=1
	;; [unrolled: 15-line block ×5, first 2 shown]
	s_or_b64 exec, exec, s[74:75]
	s_waitcnt lgkmcnt(0)
	s_barrier
	s_and_saveexec_b64 s[74:75], s[48:49]
	s_cbranch_execz .LBB0_81
; %bb.80:                               ;   in Loop: Header=BB0_53 Depth=1
	ds_read_b128 v[46:49], v51
	s_waitcnt lgkmcnt(0)
	v_add_co_u32_e64 v28, s[62:63], v48, v46
	v_addc_co_u32_e64 v29, s[62:63], v49, v47, s[62:63]
	v_mov_b32_e32 v26, v48
	v_mov_b32_e32 v27, v49
	ds_write_b128 v51, v[26:29]
.LBB0_81:                               ;   in Loop: Header=BB0_53 Depth=1
	s_or_b64 exec, exec, s[74:75]
	s_waitcnt lgkmcnt(0)
	s_barrier
	s_barrier
	ds_read_b64 v[0:1], v30 offset:17440
	s_waitcnt lgkmcnt(0)
	s_barrier
	ds_read_b64 v[26:27], v34
	s_waitcnt lgkmcnt(0)
	ds_write_b64 v33, v[26:27]
	s_and_saveexec_b64 s[62:63], s[60:61]
	s_cbranch_execz .LBB0_83
; %bb.82:                               ;   in Loop: Header=BB0_53 Depth=1
	ds_write_b64 v30, v[0:1] offset:16384
.LBB0_83:                               ;   in Loop: Header=BB0_53 Depth=1
	s_or_b64 exec, exec, s[62:63]
	ds_read_b64 v[0:1], v33 offset:8
	s_waitcnt lgkmcnt(0)
	ds_write_b64 v34, v[0:1]
	s_waitcnt lgkmcnt(0)
	s_barrier
	s_and_saveexec_b64 s[74:75], s[48:49]
	s_cbranch_execz .LBB0_85
; %bb.84:                               ;   in Loop: Header=BB0_53 Depth=1
	ds_read_b128 v[26:29], v51
	s_waitcnt lgkmcnt(0)
	v_add_co_u32_e64 v0, s[62:63], v28, v26
	v_addc_co_u32_e64 v1, s[62:63], v29, v27, s[62:63]
	ds_write_b64 v51, v[0:1] offset:8
.LBB0_85:                               ;   in Loop: Header=BB0_53 Depth=1
	s_or_b64 exec, exec, s[74:75]
	s_waitcnt lgkmcnt(0)
	s_barrier
	s_and_saveexec_b64 s[74:75], s[50:51]
	s_cbranch_execz .LBB0_87
; %bb.86:                               ;   in Loop: Header=BB0_53 Depth=1
	ds_read_b64 v[0:1], v36 offset:16408
	ds_read_b64 v[26:27], v35 offset:16408
	s_waitcnt lgkmcnt(0)
	v_add_co_u32_e64 v0, s[62:63], v26, v0
	v_addc_co_u32_e64 v1, s[62:63], v27, v1, s[62:63]
	ds_write_b64 v35, v[0:1] offset:16408
.LBB0_87:                               ;   in Loop: Header=BB0_53 Depth=1
	s_or_b64 exec, exec, s[74:75]
	s_waitcnt lgkmcnt(0)
	s_barrier
	s_and_saveexec_b64 s[74:75], s[52:53]
	s_cbranch_execz .LBB0_89
; %bb.88:                               ;   in Loop: Header=BB0_53 Depth=1
	ds_read_b64 v[0:1], v38 offset:16408
	ds_read_b64 v[26:27], v37 offset:16408
	s_waitcnt lgkmcnt(0)
	v_add_co_u32_e64 v0, s[62:63], v26, v0
	v_addc_co_u32_e64 v1, s[62:63], v27, v1, s[62:63]
	ds_write_b64 v37, v[0:1] offset:16408
.LBB0_89:                               ;   in Loop: Header=BB0_53 Depth=1
	;; [unrolled: 13-line block ×5, first 2 shown]
	s_or_b64 exec, exec, s[74:75]
	s_waitcnt lgkmcnt(0)
	s_barrier
	s_and_saveexec_b64 s[74:75], s[60:61]
	s_cbranch_execz .LBB0_97
; %bb.96:                               ;   in Loop: Header=BB0_53 Depth=1
	ds_read2st64_b64 v[26:29], v54 offset0:33 offset1:34
	s_waitcnt lgkmcnt(0)
	v_add_co_u32_e64 v0, s[62:63], v28, v26
	v_addc_co_u32_e64 v1, s[62:63], v29, v27, s[62:63]
	ds_write_b64 v30, v[0:1] offset:17432
.LBB0_97:                               ;   in Loop: Header=BB0_53 Depth=1
	s_or_b64 exec, exec, s[74:75]
	s_waitcnt lgkmcnt(0)
	s_barrier
	s_barrier
	s_and_saveexec_b64 s[74:75], s[60:61]
	s_cbranch_execz .LBB0_99
; %bb.98:                               ;   in Loop: Header=BB0_53 Depth=1
	ds_read_b64 v[0:1], v30 offset:17432
	v_mov_b32_e32 v31, v30
	s_waitcnt lgkmcnt(0)
	ds_write_b64 v30, v[0:1] offset:17440
	s_waitcnt lgkmcnt(0)
	ds_write_b64 v30, v[30:31] offset:17432
	s_waitcnt lgkmcnt(0)
	ds_read2st64_b64 v[26:29], v54 offset0:33 offset1:34
	s_waitcnt lgkmcnt(0)
	v_add_co_u32_e64 v0, s[62:63], v28, v26
	v_addc_co_u32_e64 v1, s[62:63], v29, v27, s[62:63]
	ds_write2st64_b64 v54, v[28:29], v[0:1] offset0:33 offset1:34
.LBB0_99:                               ;   in Loop: Header=BB0_53 Depth=1
	s_or_b64 exec, exec, s[74:75]
	s_waitcnt lgkmcnt(0)
	s_barrier
	s_and_saveexec_b64 s[74:75], s[58:59]
	s_cbranch_execz .LBB0_101
; %bb.100:                              ;   in Loop: Header=BB0_53 Depth=1
	ds_read_b64 v[0:1], v43 offset:16408
	ds_read_b64 v[26:27], v44 offset:16408
	s_waitcnt lgkmcnt(1)
	ds_write_b64 v44, v[0:1] offset:16408
	s_waitcnt lgkmcnt(1)
	v_add_co_u32_e64 v0, s[62:63], v0, v26
	v_addc_co_u32_e64 v1, s[62:63], v1, v27, s[62:63]
	ds_write_b64 v43, v[0:1] offset:16408
.LBB0_101:                              ;   in Loop: Header=BB0_53 Depth=1
	s_or_b64 exec, exec, s[74:75]
	s_waitcnt lgkmcnt(0)
	s_barrier
	s_and_saveexec_b64 s[74:75], s[56:57]
	s_cbranch_execz .LBB0_103
; %bb.102:                              ;   in Loop: Header=BB0_53 Depth=1
	ds_read_b64 v[0:1], v41 offset:16408
	ds_read_b64 v[26:27], v42 offset:16408
	s_waitcnt lgkmcnt(1)
	ds_write_b64 v42, v[0:1] offset:16408
	s_waitcnt lgkmcnt(1)
	v_add_co_u32_e64 v0, s[62:63], v0, v26
	v_addc_co_u32_e64 v1, s[62:63], v1, v27, s[62:63]
	ds_write_b64 v41, v[0:1] offset:16408
.LBB0_103:                              ;   in Loop: Header=BB0_53 Depth=1
	;; [unrolled: 15-line block ×5, first 2 shown]
	s_or_b64 exec, exec, s[74:75]
	s_waitcnt lgkmcnt(0)
	s_barrier
	s_and_saveexec_b64 s[74:75], s[48:49]
	s_cbranch_execz .LBB0_111
; %bb.110:                              ;   in Loop: Header=BB0_53 Depth=1
	ds_read_b128 v[26:29], v51
	s_waitcnt lgkmcnt(0)
	v_add_co_u32_e64 v48, s[62:63], v28, v26
	v_addc_co_u32_e64 v49, s[62:63], v29, v27, s[62:63]
	v_mov_b32_e32 v46, v28
	v_mov_b32_e32 v47, v29
	ds_write_b128 v51, v[46:49]
.LBB0_111:                              ;   in Loop: Header=BB0_53 Depth=1
	s_or_b64 exec, exec, s[74:75]
	s_waitcnt lgkmcnt(0)
	s_barrier
	s_barrier
	ds_read_b64 v[0:1], v30 offset:17440
	s_waitcnt lgkmcnt(0)
	s_barrier
	ds_read_b64 v[26:27], v34
	s_waitcnt lgkmcnt(0)
	ds_write_b64 v33, v[26:27] offset:8
	s_and_saveexec_b64 s[62:63], s[60:61]
	s_cbranch_execz .LBB0_113
; %bb.112:                              ;   in Loop: Header=BB0_53 Depth=1
	ds_write_b64 v30, v[0:1] offset:16392
.LBB0_113:                              ;   in Loop: Header=BB0_53 Depth=1
	s_or_b64 exec, exec, s[62:63]
	ds_read_b64 v[0:1], v33 offset:16
	s_waitcnt lgkmcnt(0)
	ds_write_b64 v34, v[0:1]
	s_waitcnt lgkmcnt(0)
	s_barrier
	s_and_saveexec_b64 s[74:75], s[48:49]
	s_cbranch_execz .LBB0_115
; %bb.114:                              ;   in Loop: Header=BB0_53 Depth=1
	ds_read_b128 v[26:29], v51
	s_waitcnt lgkmcnt(0)
	v_add_co_u32_e64 v0, s[62:63], v28, v26
	v_addc_co_u32_e64 v1, s[62:63], v29, v27, s[62:63]
	ds_write_b64 v51, v[0:1] offset:8
.LBB0_115:                              ;   in Loop: Header=BB0_53 Depth=1
	s_or_b64 exec, exec, s[74:75]
	s_waitcnt lgkmcnt(0)
	s_barrier
	s_and_saveexec_b64 s[74:75], s[50:51]
	s_cbranch_execz .LBB0_117
; %bb.116:                              ;   in Loop: Header=BB0_53 Depth=1
	ds_read_b64 v[0:1], v36 offset:16408
	ds_read_b64 v[26:27], v35 offset:16408
	s_waitcnt lgkmcnt(0)
	v_add_co_u32_e64 v0, s[62:63], v26, v0
	v_addc_co_u32_e64 v1, s[62:63], v27, v1, s[62:63]
	ds_write_b64 v35, v[0:1] offset:16408
.LBB0_117:                              ;   in Loop: Header=BB0_53 Depth=1
	s_or_b64 exec, exec, s[74:75]
	s_waitcnt lgkmcnt(0)
	s_barrier
	s_and_saveexec_b64 s[74:75], s[52:53]
	s_cbranch_execz .LBB0_119
; %bb.118:                              ;   in Loop: Header=BB0_53 Depth=1
	ds_read_b64 v[0:1], v38 offset:16408
	ds_read_b64 v[26:27], v37 offset:16408
	s_waitcnt lgkmcnt(0)
	v_add_co_u32_e64 v0, s[62:63], v26, v0
	v_addc_co_u32_e64 v1, s[62:63], v27, v1, s[62:63]
	ds_write_b64 v37, v[0:1] offset:16408
.LBB0_119:                              ;   in Loop: Header=BB0_53 Depth=1
	;; [unrolled: 13-line block ×5, first 2 shown]
	s_or_b64 exec, exec, s[74:75]
	s_waitcnt lgkmcnt(0)
	s_barrier
	s_and_saveexec_b64 s[74:75], s[60:61]
	s_cbranch_execz .LBB0_127
; %bb.126:                              ;   in Loop: Header=BB0_53 Depth=1
	ds_read2st64_b64 v[26:29], v54 offset0:33 offset1:34
	s_waitcnt lgkmcnt(0)
	v_add_co_u32_e64 v0, s[62:63], v28, v26
	v_addc_co_u32_e64 v1, s[62:63], v29, v27, s[62:63]
	ds_write_b64 v30, v[0:1] offset:17432
.LBB0_127:                              ;   in Loop: Header=BB0_53 Depth=1
	s_or_b64 exec, exec, s[74:75]
	s_waitcnt lgkmcnt(0)
	s_barrier
	s_barrier
	s_and_saveexec_b64 s[74:75], s[60:61]
	s_cbranch_execz .LBB0_129
; %bb.128:                              ;   in Loop: Header=BB0_53 Depth=1
	ds_read_b64 v[0:1], v30 offset:17432
	v_mov_b32_e32 v31, v30
	s_waitcnt lgkmcnt(0)
	ds_write_b64 v30, v[0:1] offset:17440
	s_waitcnt lgkmcnt(0)
	ds_write_b64 v30, v[30:31] offset:17432
	s_waitcnt lgkmcnt(0)
	ds_read2st64_b64 v[26:29], v54 offset0:33 offset1:34
	s_waitcnt lgkmcnt(0)
	v_add_co_u32_e64 v0, s[62:63], v28, v26
	v_addc_co_u32_e64 v1, s[62:63], v29, v27, s[62:63]
	ds_write2st64_b64 v54, v[28:29], v[0:1] offset0:33 offset1:34
.LBB0_129:                              ;   in Loop: Header=BB0_53 Depth=1
	s_or_b64 exec, exec, s[74:75]
	s_waitcnt lgkmcnt(0)
	s_barrier
	s_and_saveexec_b64 s[74:75], s[58:59]
	s_cbranch_execz .LBB0_131
; %bb.130:                              ;   in Loop: Header=BB0_53 Depth=1
	ds_read_b64 v[0:1], v43 offset:16408
	ds_read_b64 v[26:27], v44 offset:16408
	s_waitcnt lgkmcnt(1)
	ds_write_b64 v44, v[0:1] offset:16408
	s_waitcnt lgkmcnt(1)
	v_add_co_u32_e64 v0, s[62:63], v0, v26
	v_addc_co_u32_e64 v1, s[62:63], v1, v27, s[62:63]
	ds_write_b64 v43, v[0:1] offset:16408
.LBB0_131:                              ;   in Loop: Header=BB0_53 Depth=1
	s_or_b64 exec, exec, s[74:75]
	s_waitcnt lgkmcnt(0)
	s_barrier
	s_and_saveexec_b64 s[74:75], s[56:57]
	s_cbranch_execz .LBB0_133
; %bb.132:                              ;   in Loop: Header=BB0_53 Depth=1
	ds_read_b64 v[0:1], v41 offset:16408
	ds_read_b64 v[26:27], v42 offset:16408
	s_waitcnt lgkmcnt(1)
	ds_write_b64 v42, v[0:1] offset:16408
	s_waitcnt lgkmcnt(1)
	v_add_co_u32_e64 v0, s[62:63], v0, v26
	v_addc_co_u32_e64 v1, s[62:63], v1, v27, s[62:63]
	ds_write_b64 v41, v[0:1] offset:16408
.LBB0_133:                              ;   in Loop: Header=BB0_53 Depth=1
	;; [unrolled: 15-line block ×5, first 2 shown]
	s_or_b64 exec, exec, s[74:75]
	s_waitcnt lgkmcnt(0)
	s_barrier
	s_and_saveexec_b64 s[74:75], s[48:49]
	s_cbranch_execz .LBB0_141
; %bb.140:                              ;   in Loop: Header=BB0_53 Depth=1
	ds_read_b128 v[26:29], v51
	s_waitcnt lgkmcnt(0)
	v_add_co_u32_e64 v48, s[62:63], v28, v26
	v_addc_co_u32_e64 v49, s[62:63], v29, v27, s[62:63]
	v_mov_b32_e32 v46, v28
	v_mov_b32_e32 v47, v29
	ds_write_b128 v51, v[46:49]
.LBB0_141:                              ;   in Loop: Header=BB0_53 Depth=1
	s_or_b64 exec, exec, s[74:75]
	s_waitcnt lgkmcnt(0)
	s_barrier
	s_barrier
	ds_read_b64 v[0:1], v30 offset:17440
	s_waitcnt lgkmcnt(0)
	s_barrier
	ds_read_b64 v[26:27], v34
	s_waitcnt lgkmcnt(0)
	ds_write_b64 v33, v[26:27] offset:16
	s_and_saveexec_b64 s[62:63], s[60:61]
	s_cbranch_execz .LBB0_143
; %bb.142:                              ;   in Loop: Header=BB0_53 Depth=1
	ds_write_b64 v30, v[0:1] offset:16400
.LBB0_143:                              ;   in Loop: Header=BB0_53 Depth=1
	s_or_b64 exec, exec, s[62:63]
	ds_read_b64 v[0:1], v33 offset:24
	s_waitcnt lgkmcnt(0)
	ds_write_b64 v34, v[0:1]
	s_waitcnt lgkmcnt(0)
	s_barrier
	s_and_saveexec_b64 s[74:75], s[48:49]
	s_cbranch_execz .LBB0_145
; %bb.144:                              ;   in Loop: Header=BB0_53 Depth=1
	ds_read_b128 v[26:29], v51
	s_waitcnt lgkmcnt(0)
	v_add_co_u32_e64 v0, s[62:63], v28, v26
	v_addc_co_u32_e64 v1, s[62:63], v29, v27, s[62:63]
	ds_write_b64 v51, v[0:1] offset:8
.LBB0_145:                              ;   in Loop: Header=BB0_53 Depth=1
	s_or_b64 exec, exec, s[74:75]
	s_waitcnt lgkmcnt(0)
	s_barrier
	s_and_saveexec_b64 s[74:75], s[50:51]
	s_cbranch_execz .LBB0_147
; %bb.146:                              ;   in Loop: Header=BB0_53 Depth=1
	ds_read_b64 v[0:1], v36 offset:16408
	ds_read_b64 v[26:27], v35 offset:16408
	s_waitcnt lgkmcnt(0)
	v_add_co_u32_e64 v0, s[62:63], v26, v0
	v_addc_co_u32_e64 v1, s[62:63], v27, v1, s[62:63]
	ds_write_b64 v35, v[0:1] offset:16408
.LBB0_147:                              ;   in Loop: Header=BB0_53 Depth=1
	s_or_b64 exec, exec, s[74:75]
	s_waitcnt lgkmcnt(0)
	s_barrier
	s_and_saveexec_b64 s[74:75], s[52:53]
	s_cbranch_execz .LBB0_149
; %bb.148:                              ;   in Loop: Header=BB0_53 Depth=1
	ds_read_b64 v[0:1], v38 offset:16408
	ds_read_b64 v[26:27], v37 offset:16408
	s_waitcnt lgkmcnt(0)
	v_add_co_u32_e64 v0, s[62:63], v26, v0
	v_addc_co_u32_e64 v1, s[62:63], v27, v1, s[62:63]
	ds_write_b64 v37, v[0:1] offset:16408
.LBB0_149:                              ;   in Loop: Header=BB0_53 Depth=1
	;; [unrolled: 13-line block ×5, first 2 shown]
	s_or_b64 exec, exec, s[74:75]
	s_waitcnt lgkmcnt(0)
	s_barrier
	s_and_saveexec_b64 s[74:75], s[60:61]
	s_cbranch_execz .LBB0_157
; %bb.156:                              ;   in Loop: Header=BB0_53 Depth=1
	ds_read2st64_b64 v[26:29], v54 offset0:33 offset1:34
	s_waitcnt lgkmcnt(0)
	v_add_co_u32_e64 v0, s[62:63], v28, v26
	v_addc_co_u32_e64 v1, s[62:63], v29, v27, s[62:63]
	ds_write_b64 v30, v[0:1] offset:17432
.LBB0_157:                              ;   in Loop: Header=BB0_53 Depth=1
	s_or_b64 exec, exec, s[74:75]
	s_waitcnt lgkmcnt(0)
	s_barrier
	s_barrier
	s_and_saveexec_b64 s[74:75], s[60:61]
	s_cbranch_execz .LBB0_159
; %bb.158:                              ;   in Loop: Header=BB0_53 Depth=1
	ds_read_b64 v[0:1], v30 offset:17432
	v_mov_b32_e32 v31, v30
	s_waitcnt lgkmcnt(0)
	ds_write_b64 v30, v[0:1] offset:17440
	s_waitcnt lgkmcnt(0)
	ds_write_b64 v30, v[30:31] offset:17432
	s_waitcnt lgkmcnt(0)
	ds_read2st64_b64 v[26:29], v54 offset0:33 offset1:34
	s_waitcnt lgkmcnt(0)
	v_add_co_u32_e64 v0, s[62:63], v28, v26
	v_addc_co_u32_e64 v1, s[62:63], v29, v27, s[62:63]
	ds_write2st64_b64 v54, v[28:29], v[0:1] offset0:33 offset1:34
.LBB0_159:                              ;   in Loop: Header=BB0_53 Depth=1
	s_or_b64 exec, exec, s[74:75]
	s_waitcnt lgkmcnt(0)
	s_barrier
	s_and_saveexec_b64 s[74:75], s[58:59]
	s_cbranch_execz .LBB0_161
; %bb.160:                              ;   in Loop: Header=BB0_53 Depth=1
	ds_read_b64 v[0:1], v43 offset:16408
	ds_read_b64 v[26:27], v44 offset:16408
	s_waitcnt lgkmcnt(1)
	ds_write_b64 v44, v[0:1] offset:16408
	s_waitcnt lgkmcnt(1)
	v_add_co_u32_e64 v0, s[62:63], v0, v26
	v_addc_co_u32_e64 v1, s[62:63], v1, v27, s[62:63]
	ds_write_b64 v43, v[0:1] offset:16408
.LBB0_161:                              ;   in Loop: Header=BB0_53 Depth=1
	s_or_b64 exec, exec, s[74:75]
	s_waitcnt lgkmcnt(0)
	s_barrier
	s_and_saveexec_b64 s[74:75], s[56:57]
	s_cbranch_execz .LBB0_163
; %bb.162:                              ;   in Loop: Header=BB0_53 Depth=1
	ds_read_b64 v[0:1], v41 offset:16408
	ds_read_b64 v[26:27], v42 offset:16408
	s_waitcnt lgkmcnt(1)
	ds_write_b64 v42, v[0:1] offset:16408
	s_waitcnt lgkmcnt(1)
	v_add_co_u32_e64 v0, s[62:63], v0, v26
	v_addc_co_u32_e64 v1, s[62:63], v1, v27, s[62:63]
	ds_write_b64 v41, v[0:1] offset:16408
.LBB0_163:                              ;   in Loop: Header=BB0_53 Depth=1
	;; [unrolled: 15-line block ×5, first 2 shown]
	s_or_b64 exec, exec, s[74:75]
	s_waitcnt lgkmcnt(0)
	s_barrier
	s_and_saveexec_b64 s[74:75], s[48:49]
	s_cbranch_execz .LBB0_171
; %bb.170:                              ;   in Loop: Header=BB0_53 Depth=1
	ds_read_b128 v[26:29], v51
	s_waitcnt lgkmcnt(0)
	v_add_co_u32_e64 v48, s[62:63], v28, v26
	v_addc_co_u32_e64 v49, s[62:63], v29, v27, s[62:63]
	v_mov_b32_e32 v46, v28
	v_mov_b32_e32 v47, v29
	ds_write_b128 v51, v[46:49]
.LBB0_171:                              ;   in Loop: Header=BB0_53 Depth=1
	s_or_b64 exec, exec, s[74:75]
	s_waitcnt lgkmcnt(0)
	s_barrier
	s_barrier
	ds_read_b64 v[0:1], v30 offset:17440
	s_waitcnt lgkmcnt(0)
	s_barrier
	ds_read_b64 v[26:27], v34
	s_waitcnt lgkmcnt(0)
	ds_write_b64 v33, v[26:27] offset:24
	s_and_saveexec_b64 s[62:63], s[60:61]
	s_cbranch_execz .LBB0_173
; %bb.172:                              ;   in Loop: Header=BB0_53 Depth=1
	ds_write_b64 v30, v[0:1] offset:16408
.LBB0_173:                              ;   in Loop: Header=BB0_53 Depth=1
	s_or_b64 exec, exec, s[62:63]
	s_waitcnt lgkmcnt(0)
	s_barrier
	s_and_saveexec_b64 s[62:63], s[54:55]
	s_xor_b64 s[62:63], exec, s[62:63]
	s_cbranch_execz .LBB0_175
; %bb.174:                              ;   in Loop: Header=BB0_53 Depth=1
	buffer_load_dword v0, off, s[76:79], 0 offset:4 ; 4-byte Folded Reload
	s_waitcnt vmcnt(0)
	ds_read_u16 v0, v0 offset:4096
	ds_read_u16 v1, v45 offset:2
	s_waitcnt lgkmcnt(0)
	v_add_u16_e32 v0, v1, v0
	ds_write_b16 v45, v0 offset:2
.LBB0_175:                              ;   in Loop: Header=BB0_53 Depth=1
	s_or_b64 exec, exec, s[62:63]
	s_waitcnt lgkmcnt(0)
	s_barrier
	s_and_saveexec_b64 s[62:63], s[56:57]
	s_cbranch_execz .LBB0_177
; %bb.176:                              ;   in Loop: Header=BB0_53 Depth=1
	ds_read_u16 v0, v127 offset:16382
	ds_read_u16 v1, v32 offset:16382
	s_waitcnt lgkmcnt(0)
	v_add_u16_e32 v0, v1, v0
	ds_write_b16 v32, v0 offset:16382
.LBB0_177:                              ;   in Loop: Header=BB0_53 Depth=1
	s_or_b64 exec, exec, s[62:63]
	s_waitcnt lgkmcnt(0)
	s_barrier
	s_and_saveexec_b64 s[62:63], s[58:59]
	s_cbranch_execz .LBB0_179
; %bb.178:                              ;   in Loop: Header=BB0_53 Depth=1
	buffer_load_dword v0, off, s[76:79], 0  ; 4-byte Folded Reload
	s_waitcnt vmcnt(0)
	ds_read_u16 v0, v0 offset:16382
	ds_read_u16 v1, v52 offset:16382
	s_waitcnt lgkmcnt(0)
	v_add_u16_e32 v0, v1, v0
	ds_write_b16 v52, v0 offset:16382
.LBB0_179:                              ;   in Loop: Header=BB0_53 Depth=1
	s_or_b64 exec, exec, s[62:63]
	s_waitcnt lgkmcnt(0)
	s_barrier
	s_and_saveexec_b64 s[62:63], s[60:61]
	s_cbranch_execz .LBB0_181
; %bb.180:                              ;   in Loop: Header=BB0_53 Depth=1
	ds_read_u16 v0, v30 offset:16398
	ds_read_u16 v1, v30 offset:16414
	s_waitcnt lgkmcnt(0)
	v_add_u32_e32 v0, v1, v0
	ds_write_b16 v30, v0 offset:16414
.LBB0_181:                              ;   in Loop: Header=BB0_53 Depth=1
	s_or_b64 exec, exec, s[62:63]
	s_waitcnt lgkmcnt(0)
	s_barrier
	s_barrier
	s_and_saveexec_b64 s[62:63], s[60:61]
	s_cbranch_execz .LBB0_183
; %bb.182:                              ;   in Loop: Header=BB0_53 Depth=1
	ds_read_u16 v0, v30 offset:16414
	s_waitcnt lgkmcnt(0)
	ds_write_b16 v30, v0 offset:17448
	s_waitcnt lgkmcnt(0)
	ds_write_b16 v30, v30 offset:16414
	s_waitcnt lgkmcnt(0)
	ds_read_u16 v0, v30 offset:16414
	ds_read_u16 v1, v30 offset:16398
	s_waitcnt lgkmcnt(1)
	ds_write_b16 v30, v0 offset:16398
	s_waitcnt lgkmcnt(1)
	v_add_u32_e32 v0, v0, v1
	ds_write_b16 v30, v0 offset:16414
.LBB0_183:                              ;   in Loop: Header=BB0_53 Depth=1
	s_or_b64 exec, exec, s[62:63]
	s_waitcnt lgkmcnt(0)
	s_barrier
	s_and_saveexec_b64 s[62:63], s[58:59]
	s_cbranch_execz .LBB0_185
; %bb.184:                              ;   in Loop: Header=BB0_53 Depth=1
	buffer_load_dword v26, off, s[76:79], 0 ; 4-byte Folded Reload
	ds_read_u16 v0, v52 offset:16382
	s_waitcnt vmcnt(0)
	ds_read_u16 v1, v26 offset:16382
	s_waitcnt lgkmcnt(1)
	ds_write_b16 v26, v0 offset:16382
	s_waitcnt lgkmcnt(1)
	v_add_u16_e32 v0, v0, v1
	ds_write_b16 v52, v0 offset:16382
.LBB0_185:                              ;   in Loop: Header=BB0_53 Depth=1
	s_or_b64 exec, exec, s[62:63]
	s_waitcnt lgkmcnt(0)
	s_barrier
	s_and_saveexec_b64 s[62:63], s[56:57]
	s_cbranch_execz .LBB0_187
; %bb.186:                              ;   in Loop: Header=BB0_53 Depth=1
	ds_read_u16 v0, v32 offset:16382
	ds_read_u16 v1, v127 offset:16382
	s_waitcnt lgkmcnt(1)
	ds_write_b16 v127, v0 offset:16382
	s_waitcnt lgkmcnt(1)
	v_add_u16_e32 v0, v0, v1
	ds_write_b16 v32, v0 offset:16382
.LBB0_187:                              ;   in Loop: Header=BB0_53 Depth=1
	s_or_b64 exec, exec, s[62:63]
	s_waitcnt lgkmcnt(0)
	s_barrier
	s_and_saveexec_b64 s[62:63], s[54:55]
	s_cbranch_execz .LBB0_189
; %bb.188:                              ;   in Loop: Header=BB0_53 Depth=1
	buffer_load_dword v26, off, s[76:79], 0 offset:4 ; 4-byte Folded Reload
	ds_read_u16 v0, v45 offset:2
	s_waitcnt vmcnt(0)
	ds_read_u16 v1, v26 offset:4096
	s_waitcnt lgkmcnt(1)
	ds_write_b16 v26, v0 offset:4096
	s_waitcnt lgkmcnt(1)
	v_add_u16_e32 v0, v0, v1
	ds_write_b16 v45, v0 offset:2
.LBB0_189:                              ;   in Loop: Header=BB0_53 Depth=1
	s_or_b64 exec, exec, s[62:63]
	s_waitcnt lgkmcnt(0)
	s_barrier
	s_barrier
	;; [unrolled: 1-line block ×3, first 2 shown]
	ds_read_u16 v0, v124
	v_lshl_or_b32 v1, v120, 3, v126
	ds_read_u16 v1, v1 offset:16384
	v_lshl_or_b32 v27, v115, 3, v125
	v_lshl_or_b32 v29, v110, 3, v122
	s_waitcnt lgkmcnt(1)
	v_add_u16_e32 v26, 1, v0
	ds_write_b16 v124, v26
	ds_read_u16 v26, v121
	ds_read_u16 v27, v27 offset:16384
	v_lshl_or_b32 v46, v105, 3, v117
	v_lshl_or_b32 v48, v103, 3, v113
	;; [unrolled: 1-line block ×3, first 2 shown]
	s_waitcnt lgkmcnt(1)
	v_add_u16_e32 v28, 1, v26
	ds_write_b16 v121, v28
	ds_read_u16 v28, v116
	ds_read_u16 v29, v29 offset:16384
	v_lshl_or_b32 v103, v107, 3, v118
	v_lshl_or_b32 v104, v104, 3, v114
	v_lshlrev_b32_sdwa v0, v53, v0 dst_sel:DWORD dst_unused:UNUSED_PAD src0_sel:DWORD src1_sel:WORD_0
	s_waitcnt lgkmcnt(1)
	v_add_u16_e32 v31, 1, v28
	ds_write_b16 v116, v31
	ds_read_u16 v31, v111
	ds_read_u16 v46, v46 offset:16384
	v_lshl_add_u32 v0, v1, 2, v0
	s_add_i32 s33, s69, 4
	s_waitcnt lgkmcnt(1)
	v_add_u16_e32 v47, 1, v31
	ds_write_b16 v111, v47
	ds_read_u16 v47, v106
	ds_read_u16 v48, v48 offset:16384
	s_waitcnt lgkmcnt(1)
	v_add_u16_e32 v49, 1, v47
	ds_write_b16 v106, v49
	ds_read_u16 v49, v101
	ds_read_u16 v102, v102 offset:16384
	v_lshl_or_b32 v106, v112, 3, v123
	s_waitcnt lgkmcnt(1)
	v_add_u16_e32 v105, 1, v49
	ds_write_b16 v101, v105
	ds_read_u16 v101, v103 offset:16384
	ds_read_u16 v103, v91
	v_lshl_or_b32 v105, v108, 3, v119
	s_waitcnt lgkmcnt(0)
	v_add_u16_e32 v107, 1, v103
	ds_write_b16 v91, v107
	ds_read_u16 v91, v104 offset:16384
	ds_read_u16 v104, v94
	ds_write_b32 v0, v22
	v_lshlrev_b32_sdwa v0, v53, v26 dst_sel:DWORD dst_unused:UNUSED_PAD src0_sel:DWORD src1_sel:WORD_0
	v_lshl_add_u32 v0, v27, 2, v0
	s_waitcnt lgkmcnt(1)
	v_add_u16_e32 v1, 1, v104
	ds_write_b16 v94, v1
	ds_read_u16 v1, v105 offset:16384
	ds_read_u16 v22, v96
	ds_write_b32 v0, v23
	v_lshlrev_b32_sdwa v0, v53, v28 dst_sel:DWORD dst_unused:UNUSED_PAD src0_sel:DWORD src1_sel:WORD_0
	v_lshl_add_u32 v0, v29, 2, v0
	ds_write_b32 v0, v24
	s_waitcnt lgkmcnt(2)
	v_add_u16_e32 v0, 1, v22
	ds_write_b16 v96, v0
	ds_read_u16 v0, v106 offset:16384
	ds_read_u16 v23, v97
	v_lshlrev_b32_sdwa v24, v53, v31 dst_sel:DWORD dst_unused:UNUSED_PAD src0_sel:DWORD src1_sel:WORD_0
	v_lshl_add_u32 v24, v46, 2, v24
	ds_write_b32 v24, v25
	v_lshlrev_b32_sdwa v24, v53, v47 dst_sel:DWORD dst_unused:UNUSED_PAD src0_sel:DWORD src1_sel:WORD_0
	s_waitcnt lgkmcnt(1)
	v_add_u16_e32 v25, 1, v23
	ds_write_b16 v97, v25
	v_lshl_or_b32 v25, v99, 3, v100
	ds_read_u16 v25, v25 offset:16384
	ds_read_u16 v26, v92
	v_lshl_add_u32 v24, v48, 2, v24
	ds_write_b32 v24, v18
	v_lshlrev_b32_sdwa v18, v53, v49 dst_sel:DWORD dst_unused:UNUSED_PAD src0_sel:DWORD src1_sel:WORD_0
	v_lshl_add_u32 v18, v102, 2, v18
	s_waitcnt lgkmcnt(1)
	v_add_u16_e32 v24, 1, v26
	ds_write_b16 v92, v24
	v_lshl_or_b32 v24, v95, 3, v98
	ds_read_u16 v24, v24 offset:16384
	ds_read_u16 v27, v88
	ds_write_b32 v18, v19
	v_lshlrev_b32_sdwa v18, v53, v103 dst_sel:DWORD dst_unused:UNUSED_PAD src0_sel:DWORD src1_sel:WORD_0
	v_lshl_add_u32 v18, v101, 2, v18
	ds_write_b32 v18, v20
	s_waitcnt lgkmcnt(2)
	v_add_u16_e32 v18, 1, v27
	ds_write_b16 v88, v18
	v_lshl_or_b32 v18, v90, 3, v93
	ds_read_u16 v18, v18 offset:16384
	ds_read_u16 v19, v85
	v_lshlrev_b32_sdwa v20, v53, v104 dst_sel:DWORD dst_unused:UNUSED_PAD src0_sel:DWORD src1_sel:WORD_0
	v_lshl_add_u32 v20, v91, 2, v20
	ds_write_b32 v20, v21
	v_lshlrev_b32_sdwa v20, v53, v22 dst_sel:DWORD dst_unused:UNUSED_PAD src0_sel:DWORD src1_sel:WORD_0
	s_waitcnt lgkmcnt(1)
	v_add_u16_e32 v21, 1, v19
	ds_write_b16 v85, v21
	v_lshl_or_b32 v21, v87, 3, v89
	ds_read_u16 v21, v21 offset:16384
	ds_read_u16 v22, v82
	v_lshl_add_u32 v1, v1, 2, v20
	ds_write_b32 v1, v14
	v_lshlrev_b32_sdwa v1, v53, v23 dst_sel:DWORD dst_unused:UNUSED_PAD src0_sel:DWORD src1_sel:WORD_0
	v_lshl_add_u32 v0, v0, 2, v1
	s_waitcnt lgkmcnt(1)
	v_add_u16_e32 v1, 1, v22
	ds_write_b16 v82, v1
	v_lshl_or_b32 v1, v84, 3, v86
	ds_read_u16 v1, v1 offset:16384
	ds_read_u16 v14, v79
	ds_write_b32 v0, v15
	v_lshlrev_b32_sdwa v0, v53, v26 dst_sel:DWORD dst_unused:UNUSED_PAD src0_sel:DWORD src1_sel:WORD_0
	v_lshl_add_u32 v0, v25, 2, v0
	ds_write_b32 v0, v16
	s_waitcnt lgkmcnt(2)
	v_add_u16_e32 v0, 1, v14
	ds_write_b16 v79, v0
	v_lshl_or_b32 v0, v81, 3, v83
	;; [unrolled: 30-line block ×4, first 2 shown]
	ds_read_u16 v0, v0 offset:16384
	ds_read_u16 v1, v58
	v_lshlrev_b32_sdwa v2, v53, v4 dst_sel:DWORD dst_unused:UNUSED_PAD src0_sel:DWORD src1_sel:WORD_0
	v_lshl_add_u32 v2, v3, 2, v2
	ds_write_b32 v2, v9
	v_lshlrev_b32_sdwa v2, v53, v6 dst_sel:DWORD dst_unused:UNUSED_PAD src0_sel:DWORD src1_sel:WORD_0
	s_waitcnt lgkmcnt(1)
	v_add_u16_e32 v3, 1, v1
	ds_write_b16 v58, v3
	v_lshl_or_b32 v3, v60, 3, v62
	ds_read_u16 v3, v3 offset:16384
	ds_read_u16 v4, v56
	v_lshlrev_b32_sdwa v1, v53, v1 dst_sel:DWORD dst_unused:UNUSED_PAD src0_sel:DWORD src1_sel:WORD_0
	v_lshl_add_u32 v2, v5, 2, v2
	v_lshl_add_u32 v0, v0, 2, v1
	ds_write_b32 v2, v10
	s_waitcnt lgkmcnt(1)
	v_add_u16_e32 v1, 1, v4
	ds_write_b16 v56, v1
	v_lshl_or_b32 v1, v57, 3, v59
	ds_read_u16 v1, v1 offset:16384
	ds_read_u16 v2, v55
	ds_write_b32 v0, v11
	v_lshlrev_b32_sdwa v0, v53, v4 dst_sel:DWORD dst_unused:UNUSED_PAD src0_sel:DWORD src1_sel:WORD_0
	v_lshl_add_u32 v0, v3, 2, v0
	ds_write_b32 v0, v12
	s_waitcnt lgkmcnt(2)
	v_add_u16_e32 v0, 1, v2
	ds_write_b16 v55, v0
	v_lshlrev_b32_sdwa v0, v53, v2 dst_sel:DWORD dst_unused:UNUSED_PAD src0_sel:DWORD src1_sel:WORD_0
	v_lshl_add_u32 v0, v1, 2, v0
	ds_write_b32 v0, v13
	s_waitcnt lgkmcnt(0)
	s_barrier
	ds_read_b128 v[12:15], v50
	ds_read_b128 v[0:3], v50 offset:16
	v_pk_mov_b32 v[4:5], s[64:65], s[64:65] op_sel:[0,1]
	v_pk_mov_b32 v[6:7], s[72:73], s[72:73] op_sel:[0,1]
	ds_write2_b64 v33, v[4:5], v[6:7] offset1:1
	ds_write2_b64 v33, v[4:5], v[6:7] offset0:2 offset1:3
	s_waitcnt lgkmcnt(3)
	v_ashrrev_i32_e32 v4, s33, v12
	v_bfe_u32 v118, v4, 2, 2
	v_and_b32_e32 v4, 3, v4
	v_lshlrev_b32_e32 v125, 1, v4
	v_lshlrev_b32_e32 v4, 3, v118
	v_or3_b32 v122, v33, v4, v125
	ds_read_u16 v4, v122
	s_waitcnt lgkmcnt(0)
	v_add_u16_e32 v4, 1, v4
	ds_write_b16 v122, v4
	v_ashrrev_i32_e32 v4, s33, v13
	v_bfe_u32 v113, v4, 2, 2
	v_and_b32_e32 v4, 3, v4
	v_lshlrev_b32_e32 v123, 1, v4
	v_lshlrev_b32_e32 v4, 3, v113
	v_or3_b32 v119, v33, v4, v123
	ds_read_u16 v4, v119
	s_waitcnt lgkmcnt(0)
	v_add_u16_e32 v4, 1, v4
	ds_write_b16 v119, v4
	;; [unrolled: 10-line block ×7, first 2 shown]
	v_ashrrev_i32_e32 v4, s33, v3
	v_bfe_u32 v104, v4, 2, 2
	v_and_b32_e32 v4, 3, v4
	v_lshlrev_b32_e32 v112, 1, v4
	v_lshlrev_b32_e32 v4, 3, v104
	v_or3_b32 v92, v33, v4, v112
	ds_read_u16 v8, v92
	ds_read_b128 v[16:19], v50 offset:32
	ds_read_b128 v[4:7], v50 offset:48
	s_waitcnt lgkmcnt(2)
	v_add_u16_e32 v8, 1, v8
	ds_write_b16 v92, v8
	s_waitcnt lgkmcnt(2)
	v_ashrrev_i32_e32 v8, s33, v16
	v_bfe_u32 v115, v8, 2, 2
	v_and_b32_e32 v8, 3, v8
	v_lshlrev_b32_e32 v124, 1, v8
	v_lshlrev_b32_e32 v8, 3, v115
	v_or3_b32 v96, v33, v8, v124
	ds_read_u16 v8, v96
	s_waitcnt lgkmcnt(0)
	v_add_u16_e32 v8, 1, v8
	ds_write_b16 v96, v8
	v_ashrrev_i32_e32 v8, s33, v17
	v_bfe_u32 v120, v8, 2, 2
	v_and_b32_e32 v8, 3, v8
	v_lshlrev_b32_e32 v126, 1, v8
	v_lshlrev_b32_e32 v8, 3, v120
	v_or3_b32 v97, v33, v8, v126
	ds_read_u16 v8, v97
	s_waitcnt lgkmcnt(0)
	v_add_u16_e32 v8, 1, v8
	ds_write_b16 v97, v8
	;; [unrolled: 10-line block ×7, first 2 shown]
	v_ashrrev_i32_e32 v8, s33, v7
	v_bfe_u32 v80, v8, 2, 2
	v_and_b32_e32 v8, 3, v8
	v_lshlrev_b32_e32 v83, 1, v8
	v_lshlrev_b32_e32 v8, 3, v80
	v_or3_b32 v75, v33, v8, v83
	ds_read_u16 v24, v75
	ds_read_b128 v[20:23], v50 offset:64
	ds_read_b128 v[8:11], v50 offset:80
	s_waitcnt lgkmcnt(2)
	v_add_u16_e32 v24, 1, v24
	ds_write_b16 v75, v24
	s_waitcnt lgkmcnt(2)
	v_ashrrev_i32_e32 v24, s33, v20
	v_bfe_u32 v79, v24, 2, 2
	v_and_b32_e32 v24, 3, v24
	v_lshlrev_b32_e32 v81, 1, v24
	v_lshlrev_b32_e32 v24, 3, v79
	v_or3_b32 v73, v33, v24, v81
	ds_read_u16 v24, v73
	s_waitcnt lgkmcnt(0)
	v_add_u16_e32 v24, 1, v24
	ds_write_b16 v73, v24
	v_ashrrev_i32_e32 v24, s33, v21
	v_bfe_u32 v76, v24, 2, 2
	v_and_b32_e32 v24, 3, v24
	v_lshlrev_b32_e32 v77, 1, v24
	v_lshlrev_b32_e32 v24, 3, v76
	v_or3_b32 v70, v33, v24, v77
	ds_read_u16 v24, v70
	s_waitcnt lgkmcnt(0)
	v_add_u16_e32 v24, 1, v24
	ds_write_b16 v70, v24
	;; [unrolled: 10-line block ×8, first 2 shown]
	s_waitcnt lgkmcnt(0)
	s_barrier
	ds_read_b64 v[24:25], v33
	s_waitcnt lgkmcnt(0)
	ds_write_b64 v34, v[24:25]
	s_waitcnt lgkmcnt(0)
	s_barrier
	s_and_saveexec_b64 s[68:69], s[48:49]
	s_cbranch_execz .LBB0_191
; %bb.190:                              ;   in Loop: Header=BB0_53 Depth=1
	ds_read_b128 v[24:27], v51
	s_waitcnt lgkmcnt(0)
	v_add_co_u32_e64 v24, s[62:63], v26, v24
	v_addc_co_u32_e64 v25, s[62:63], v27, v25, s[62:63]
	ds_write_b64 v51, v[24:25] offset:8
.LBB0_191:                              ;   in Loop: Header=BB0_53 Depth=1
	s_or_b64 exec, exec, s[68:69]
	s_waitcnt lgkmcnt(0)
	s_barrier
	s_and_saveexec_b64 s[68:69], s[50:51]
	s_cbranch_execz .LBB0_193
; %bb.192:                              ;   in Loop: Header=BB0_53 Depth=1
	ds_read_b64 v[24:25], v36 offset:16408
	ds_read_b64 v[26:27], v35 offset:16408
	s_waitcnt lgkmcnt(0)
	v_add_co_u32_e64 v24, s[62:63], v26, v24
	v_addc_co_u32_e64 v25, s[62:63], v27, v25, s[62:63]
	ds_write_b64 v35, v[24:25] offset:16408
.LBB0_193:                              ;   in Loop: Header=BB0_53 Depth=1
	s_or_b64 exec, exec, s[68:69]
	s_waitcnt lgkmcnt(0)
	s_barrier
	s_and_saveexec_b64 s[68:69], s[52:53]
	s_cbranch_execz .LBB0_195
; %bb.194:                              ;   in Loop: Header=BB0_53 Depth=1
	ds_read_b64 v[24:25], v38 offset:16408
	ds_read_b64 v[26:27], v37 offset:16408
	s_waitcnt lgkmcnt(0)
	v_add_co_u32_e64 v24, s[62:63], v26, v24
	v_addc_co_u32_e64 v25, s[62:63], v27, v25, s[62:63]
	ds_write_b64 v37, v[24:25] offset:16408
.LBB0_195:                              ;   in Loop: Header=BB0_53 Depth=1
	;; [unrolled: 13-line block ×5, first 2 shown]
	s_or_b64 exec, exec, s[68:69]
	s_waitcnt lgkmcnt(0)
	s_barrier
	s_and_saveexec_b64 s[68:69], s[60:61]
	s_cbranch_execz .LBB0_203
; %bb.202:                              ;   in Loop: Header=BB0_53 Depth=1
	ds_read2st64_b64 v[24:27], v54 offset0:33 offset1:34
	s_waitcnt lgkmcnt(0)
	v_add_co_u32_e64 v24, s[62:63], v26, v24
	v_addc_co_u32_e64 v25, s[62:63], v27, v25, s[62:63]
	ds_write_b64 v30, v[24:25] offset:17432
.LBB0_203:                              ;   in Loop: Header=BB0_53 Depth=1
	s_or_b64 exec, exec, s[68:69]
	s_waitcnt lgkmcnt(0)
	s_barrier
	s_barrier
	s_and_saveexec_b64 s[68:69], s[60:61]
	s_cbranch_execz .LBB0_205
; %bb.204:                              ;   in Loop: Header=BB0_53 Depth=1
	ds_read_b64 v[24:25], v30 offset:17432
	v_mov_b32_e32 v31, v30
	s_waitcnt lgkmcnt(0)
	ds_write_b64 v30, v[24:25] offset:17440
	s_waitcnt lgkmcnt(0)
	ds_write_b64 v30, v[30:31] offset:17432
	s_waitcnt lgkmcnt(0)
	ds_read2st64_b64 v[24:27], v54 offset0:33 offset1:34
	s_waitcnt lgkmcnt(0)
	v_add_co_u32_e64 v24, s[62:63], v26, v24
	v_addc_co_u32_e64 v25, s[62:63], v27, v25, s[62:63]
	ds_write2st64_b64 v54, v[26:27], v[24:25] offset0:33 offset1:34
.LBB0_205:                              ;   in Loop: Header=BB0_53 Depth=1
	s_or_b64 exec, exec, s[68:69]
	s_waitcnt lgkmcnt(0)
	s_barrier
	s_and_saveexec_b64 s[68:69], s[58:59]
	s_cbranch_execz .LBB0_207
; %bb.206:                              ;   in Loop: Header=BB0_53 Depth=1
	ds_read_b64 v[24:25], v43 offset:16408
	ds_read_b64 v[26:27], v44 offset:16408
	s_waitcnt lgkmcnt(1)
	ds_write_b64 v44, v[24:25] offset:16408
	s_waitcnt lgkmcnt(1)
	v_add_co_u32_e64 v24, s[62:63], v24, v26
	v_addc_co_u32_e64 v25, s[62:63], v25, v27, s[62:63]
	ds_write_b64 v43, v[24:25] offset:16408
.LBB0_207:                              ;   in Loop: Header=BB0_53 Depth=1
	s_or_b64 exec, exec, s[68:69]
	s_waitcnt lgkmcnt(0)
	s_barrier
	s_and_saveexec_b64 s[68:69], s[56:57]
	s_cbranch_execz .LBB0_209
; %bb.208:                              ;   in Loop: Header=BB0_53 Depth=1
	ds_read_b64 v[24:25], v41 offset:16408
	ds_read_b64 v[26:27], v42 offset:16408
	s_waitcnt lgkmcnt(1)
	ds_write_b64 v42, v[24:25] offset:16408
	s_waitcnt lgkmcnt(1)
	v_add_co_u32_e64 v24, s[62:63], v24, v26
	v_addc_co_u32_e64 v25, s[62:63], v25, v27, s[62:63]
	ds_write_b64 v41, v[24:25] offset:16408
.LBB0_209:                              ;   in Loop: Header=BB0_53 Depth=1
	;; [unrolled: 15-line block ×5, first 2 shown]
	s_or_b64 exec, exec, s[68:69]
	s_waitcnt lgkmcnt(0)
	s_barrier
	s_and_saveexec_b64 s[68:69], s[48:49]
	s_cbranch_execz .LBB0_217
; %bb.216:                              ;   in Loop: Header=BB0_53 Depth=1
	ds_read_b128 v[24:27], v51
	s_waitcnt lgkmcnt(0)
	v_add_co_u32_e64 v28, s[62:63], v26, v24
	v_addc_co_u32_e64 v29, s[62:63], v27, v25, s[62:63]
	ds_write_b128 v51, v[26:29]
.LBB0_217:                              ;   in Loop: Header=BB0_53 Depth=1
	s_or_b64 exec, exec, s[68:69]
	s_waitcnt lgkmcnt(0)
	s_barrier
	s_barrier
	ds_read_b64 v[24:25], v30 offset:17440
	s_waitcnt lgkmcnt(0)
	s_barrier
	ds_read_b64 v[26:27], v34
	s_waitcnt lgkmcnt(0)
	ds_write_b64 v33, v[26:27]
	s_and_saveexec_b64 s[62:63], s[60:61]
	s_cbranch_execz .LBB0_219
; %bb.218:                              ;   in Loop: Header=BB0_53 Depth=1
	ds_write_b64 v30, v[24:25] offset:16384
.LBB0_219:                              ;   in Loop: Header=BB0_53 Depth=1
	s_or_b64 exec, exec, s[62:63]
	ds_read_b64 v[24:25], v33 offset:8
	s_waitcnt lgkmcnt(0)
	ds_write_b64 v34, v[24:25]
	s_waitcnt lgkmcnt(0)
	s_barrier
	s_and_saveexec_b64 s[68:69], s[48:49]
	s_cbranch_execz .LBB0_221
; %bb.220:                              ;   in Loop: Header=BB0_53 Depth=1
	ds_read_b128 v[24:27], v51
	s_waitcnt lgkmcnt(0)
	v_add_co_u32_e64 v24, s[62:63], v26, v24
	v_addc_co_u32_e64 v25, s[62:63], v27, v25, s[62:63]
	ds_write_b64 v51, v[24:25] offset:8
.LBB0_221:                              ;   in Loop: Header=BB0_53 Depth=1
	s_or_b64 exec, exec, s[68:69]
	s_waitcnt lgkmcnt(0)
	s_barrier
	s_and_saveexec_b64 s[68:69], s[50:51]
	s_cbranch_execz .LBB0_223
; %bb.222:                              ;   in Loop: Header=BB0_53 Depth=1
	ds_read_b64 v[24:25], v36 offset:16408
	ds_read_b64 v[26:27], v35 offset:16408
	s_waitcnt lgkmcnt(0)
	v_add_co_u32_e64 v24, s[62:63], v26, v24
	v_addc_co_u32_e64 v25, s[62:63], v27, v25, s[62:63]
	ds_write_b64 v35, v[24:25] offset:16408
.LBB0_223:                              ;   in Loop: Header=BB0_53 Depth=1
	s_or_b64 exec, exec, s[68:69]
	s_waitcnt lgkmcnt(0)
	s_barrier
	s_and_saveexec_b64 s[68:69], s[52:53]
	s_cbranch_execz .LBB0_225
; %bb.224:                              ;   in Loop: Header=BB0_53 Depth=1
	ds_read_b64 v[24:25], v38 offset:16408
	ds_read_b64 v[26:27], v37 offset:16408
	s_waitcnt lgkmcnt(0)
	v_add_co_u32_e64 v24, s[62:63], v26, v24
	v_addc_co_u32_e64 v25, s[62:63], v27, v25, s[62:63]
	ds_write_b64 v37, v[24:25] offset:16408
.LBB0_225:                              ;   in Loop: Header=BB0_53 Depth=1
	;; [unrolled: 13-line block ×5, first 2 shown]
	s_or_b64 exec, exec, s[68:69]
	s_waitcnt lgkmcnt(0)
	s_barrier
	s_and_saveexec_b64 s[68:69], s[60:61]
	s_cbranch_execz .LBB0_233
; %bb.232:                              ;   in Loop: Header=BB0_53 Depth=1
	ds_read2st64_b64 v[24:27], v54 offset0:33 offset1:34
	s_waitcnt lgkmcnt(0)
	v_add_co_u32_e64 v24, s[62:63], v26, v24
	v_addc_co_u32_e64 v25, s[62:63], v27, v25, s[62:63]
	ds_write_b64 v30, v[24:25] offset:17432
.LBB0_233:                              ;   in Loop: Header=BB0_53 Depth=1
	s_or_b64 exec, exec, s[68:69]
	s_waitcnt lgkmcnt(0)
	s_barrier
	s_barrier
	s_and_saveexec_b64 s[68:69], s[60:61]
	s_cbranch_execz .LBB0_235
; %bb.234:                              ;   in Loop: Header=BB0_53 Depth=1
	ds_read_b64 v[24:25], v30 offset:17432
	v_mov_b32_e32 v31, v30
	s_waitcnt lgkmcnt(0)
	ds_write_b64 v30, v[24:25] offset:17440
	s_waitcnt lgkmcnt(0)
	ds_write_b64 v30, v[30:31] offset:17432
	s_waitcnt lgkmcnt(0)
	ds_read2st64_b64 v[24:27], v54 offset0:33 offset1:34
	s_waitcnt lgkmcnt(0)
	v_add_co_u32_e64 v24, s[62:63], v26, v24
	v_addc_co_u32_e64 v25, s[62:63], v27, v25, s[62:63]
	ds_write2st64_b64 v54, v[26:27], v[24:25] offset0:33 offset1:34
.LBB0_235:                              ;   in Loop: Header=BB0_53 Depth=1
	s_or_b64 exec, exec, s[68:69]
	s_waitcnt lgkmcnt(0)
	s_barrier
	s_and_saveexec_b64 s[68:69], s[58:59]
	s_cbranch_execz .LBB0_237
; %bb.236:                              ;   in Loop: Header=BB0_53 Depth=1
	ds_read_b64 v[24:25], v43 offset:16408
	ds_read_b64 v[26:27], v44 offset:16408
	s_waitcnt lgkmcnt(1)
	ds_write_b64 v44, v[24:25] offset:16408
	s_waitcnt lgkmcnt(1)
	v_add_co_u32_e64 v24, s[62:63], v24, v26
	v_addc_co_u32_e64 v25, s[62:63], v25, v27, s[62:63]
	ds_write_b64 v43, v[24:25] offset:16408
.LBB0_237:                              ;   in Loop: Header=BB0_53 Depth=1
	s_or_b64 exec, exec, s[68:69]
	s_waitcnt lgkmcnt(0)
	s_barrier
	s_and_saveexec_b64 s[68:69], s[56:57]
	s_cbranch_execz .LBB0_239
; %bb.238:                              ;   in Loop: Header=BB0_53 Depth=1
	ds_read_b64 v[24:25], v41 offset:16408
	ds_read_b64 v[26:27], v42 offset:16408
	s_waitcnt lgkmcnt(1)
	ds_write_b64 v42, v[24:25] offset:16408
	s_waitcnt lgkmcnt(1)
	v_add_co_u32_e64 v24, s[62:63], v24, v26
	v_addc_co_u32_e64 v25, s[62:63], v25, v27, s[62:63]
	ds_write_b64 v41, v[24:25] offset:16408
.LBB0_239:                              ;   in Loop: Header=BB0_53 Depth=1
	;; [unrolled: 15-line block ×5, first 2 shown]
	s_or_b64 exec, exec, s[68:69]
	s_waitcnt lgkmcnt(0)
	s_barrier
	s_and_saveexec_b64 s[68:69], s[48:49]
	s_cbranch_execz .LBB0_247
; %bb.246:                              ;   in Loop: Header=BB0_53 Depth=1
	ds_read_b128 v[24:27], v51
	s_waitcnt lgkmcnt(0)
	v_add_co_u32_e64 v28, s[62:63], v26, v24
	v_addc_co_u32_e64 v29, s[62:63], v27, v25, s[62:63]
	ds_write_b128 v51, v[26:29]
.LBB0_247:                              ;   in Loop: Header=BB0_53 Depth=1
	s_or_b64 exec, exec, s[68:69]
	s_waitcnt lgkmcnt(0)
	s_barrier
	s_barrier
	ds_read_b64 v[24:25], v30 offset:17440
	s_waitcnt lgkmcnt(0)
	s_barrier
	ds_read_b64 v[26:27], v34
	s_waitcnt lgkmcnt(0)
	ds_write_b64 v33, v[26:27] offset:8
	s_and_saveexec_b64 s[62:63], s[60:61]
	s_cbranch_execz .LBB0_249
; %bb.248:                              ;   in Loop: Header=BB0_53 Depth=1
	ds_write_b64 v30, v[24:25] offset:16392
.LBB0_249:                              ;   in Loop: Header=BB0_53 Depth=1
	s_or_b64 exec, exec, s[62:63]
	ds_read_b64 v[24:25], v33 offset:16
	s_waitcnt lgkmcnt(0)
	ds_write_b64 v34, v[24:25]
	s_waitcnt lgkmcnt(0)
	s_barrier
	s_and_saveexec_b64 s[68:69], s[48:49]
	s_cbranch_execz .LBB0_251
; %bb.250:                              ;   in Loop: Header=BB0_53 Depth=1
	ds_read_b128 v[24:27], v51
	s_waitcnt lgkmcnt(0)
	v_add_co_u32_e64 v24, s[62:63], v26, v24
	v_addc_co_u32_e64 v25, s[62:63], v27, v25, s[62:63]
	ds_write_b64 v51, v[24:25] offset:8
.LBB0_251:                              ;   in Loop: Header=BB0_53 Depth=1
	s_or_b64 exec, exec, s[68:69]
	s_waitcnt lgkmcnt(0)
	s_barrier
	s_and_saveexec_b64 s[68:69], s[50:51]
	s_cbranch_execz .LBB0_253
; %bb.252:                              ;   in Loop: Header=BB0_53 Depth=1
	ds_read_b64 v[24:25], v36 offset:16408
	ds_read_b64 v[26:27], v35 offset:16408
	s_waitcnt lgkmcnt(0)
	v_add_co_u32_e64 v24, s[62:63], v26, v24
	v_addc_co_u32_e64 v25, s[62:63], v27, v25, s[62:63]
	ds_write_b64 v35, v[24:25] offset:16408
.LBB0_253:                              ;   in Loop: Header=BB0_53 Depth=1
	s_or_b64 exec, exec, s[68:69]
	s_waitcnt lgkmcnt(0)
	s_barrier
	s_and_saveexec_b64 s[68:69], s[52:53]
	s_cbranch_execz .LBB0_255
; %bb.254:                              ;   in Loop: Header=BB0_53 Depth=1
	ds_read_b64 v[24:25], v38 offset:16408
	ds_read_b64 v[26:27], v37 offset:16408
	s_waitcnt lgkmcnt(0)
	v_add_co_u32_e64 v24, s[62:63], v26, v24
	v_addc_co_u32_e64 v25, s[62:63], v27, v25, s[62:63]
	ds_write_b64 v37, v[24:25] offset:16408
.LBB0_255:                              ;   in Loop: Header=BB0_53 Depth=1
	;; [unrolled: 13-line block ×5, first 2 shown]
	s_or_b64 exec, exec, s[68:69]
	s_waitcnt lgkmcnt(0)
	s_barrier
	s_and_saveexec_b64 s[68:69], s[60:61]
	s_cbranch_execz .LBB0_263
; %bb.262:                              ;   in Loop: Header=BB0_53 Depth=1
	ds_read2st64_b64 v[24:27], v54 offset0:33 offset1:34
	s_waitcnt lgkmcnt(0)
	v_add_co_u32_e64 v24, s[62:63], v26, v24
	v_addc_co_u32_e64 v25, s[62:63], v27, v25, s[62:63]
	ds_write_b64 v30, v[24:25] offset:17432
.LBB0_263:                              ;   in Loop: Header=BB0_53 Depth=1
	s_or_b64 exec, exec, s[68:69]
	s_waitcnt lgkmcnt(0)
	s_barrier
	s_barrier
	s_and_saveexec_b64 s[68:69], s[60:61]
	s_cbranch_execz .LBB0_265
; %bb.264:                              ;   in Loop: Header=BB0_53 Depth=1
	ds_read_b64 v[24:25], v30 offset:17432
	v_mov_b32_e32 v31, v30
	s_waitcnt lgkmcnt(0)
	ds_write_b64 v30, v[24:25] offset:17440
	s_waitcnt lgkmcnt(0)
	ds_write_b64 v30, v[30:31] offset:17432
	s_waitcnt lgkmcnt(0)
	ds_read2st64_b64 v[24:27], v54 offset0:33 offset1:34
	s_waitcnt lgkmcnt(0)
	v_add_co_u32_e64 v24, s[62:63], v26, v24
	v_addc_co_u32_e64 v25, s[62:63], v27, v25, s[62:63]
	ds_write2st64_b64 v54, v[26:27], v[24:25] offset0:33 offset1:34
.LBB0_265:                              ;   in Loop: Header=BB0_53 Depth=1
	s_or_b64 exec, exec, s[68:69]
	s_waitcnt lgkmcnt(0)
	s_barrier
	s_and_saveexec_b64 s[68:69], s[58:59]
	s_cbranch_execz .LBB0_267
; %bb.266:                              ;   in Loop: Header=BB0_53 Depth=1
	ds_read_b64 v[24:25], v43 offset:16408
	ds_read_b64 v[26:27], v44 offset:16408
	s_waitcnt lgkmcnt(1)
	ds_write_b64 v44, v[24:25] offset:16408
	s_waitcnt lgkmcnt(1)
	v_add_co_u32_e64 v24, s[62:63], v24, v26
	v_addc_co_u32_e64 v25, s[62:63], v25, v27, s[62:63]
	ds_write_b64 v43, v[24:25] offset:16408
.LBB0_267:                              ;   in Loop: Header=BB0_53 Depth=1
	s_or_b64 exec, exec, s[68:69]
	s_waitcnt lgkmcnt(0)
	s_barrier
	s_and_saveexec_b64 s[68:69], s[56:57]
	s_cbranch_execz .LBB0_269
; %bb.268:                              ;   in Loop: Header=BB0_53 Depth=1
	ds_read_b64 v[24:25], v41 offset:16408
	ds_read_b64 v[26:27], v42 offset:16408
	s_waitcnt lgkmcnt(1)
	ds_write_b64 v42, v[24:25] offset:16408
	s_waitcnt lgkmcnt(1)
	v_add_co_u32_e64 v24, s[62:63], v24, v26
	v_addc_co_u32_e64 v25, s[62:63], v25, v27, s[62:63]
	ds_write_b64 v41, v[24:25] offset:16408
.LBB0_269:                              ;   in Loop: Header=BB0_53 Depth=1
	;; [unrolled: 15-line block ×5, first 2 shown]
	s_or_b64 exec, exec, s[68:69]
	s_waitcnt lgkmcnt(0)
	s_barrier
	s_and_saveexec_b64 s[68:69], s[48:49]
	s_cbranch_execz .LBB0_277
; %bb.276:                              ;   in Loop: Header=BB0_53 Depth=1
	ds_read_b128 v[24:27], v51
	s_waitcnt lgkmcnt(0)
	v_add_co_u32_e64 v28, s[62:63], v26, v24
	v_addc_co_u32_e64 v29, s[62:63], v27, v25, s[62:63]
	ds_write_b128 v51, v[26:29]
.LBB0_277:                              ;   in Loop: Header=BB0_53 Depth=1
	s_or_b64 exec, exec, s[68:69]
	s_waitcnt lgkmcnt(0)
	s_barrier
	s_barrier
	ds_read_b64 v[24:25], v30 offset:17440
	s_waitcnt lgkmcnt(0)
	s_barrier
	ds_read_b64 v[26:27], v34
	s_waitcnt lgkmcnt(0)
	ds_write_b64 v33, v[26:27] offset:16
	s_and_saveexec_b64 s[62:63], s[60:61]
	s_cbranch_execz .LBB0_279
; %bb.278:                              ;   in Loop: Header=BB0_53 Depth=1
	ds_write_b64 v30, v[24:25] offset:16400
.LBB0_279:                              ;   in Loop: Header=BB0_53 Depth=1
	s_or_b64 exec, exec, s[62:63]
	ds_read_b64 v[24:25], v33 offset:24
	s_waitcnt lgkmcnt(0)
	ds_write_b64 v34, v[24:25]
	s_waitcnt lgkmcnt(0)
	s_barrier
	s_and_saveexec_b64 s[68:69], s[48:49]
	s_cbranch_execz .LBB0_281
; %bb.280:                              ;   in Loop: Header=BB0_53 Depth=1
	ds_read_b128 v[24:27], v51
	s_waitcnt lgkmcnt(0)
	v_add_co_u32_e64 v24, s[62:63], v26, v24
	v_addc_co_u32_e64 v25, s[62:63], v27, v25, s[62:63]
	ds_write_b64 v51, v[24:25] offset:8
.LBB0_281:                              ;   in Loop: Header=BB0_53 Depth=1
	s_or_b64 exec, exec, s[68:69]
	s_waitcnt lgkmcnt(0)
	s_barrier
	s_and_saveexec_b64 s[68:69], s[50:51]
	s_cbranch_execz .LBB0_283
; %bb.282:                              ;   in Loop: Header=BB0_53 Depth=1
	ds_read_b64 v[24:25], v36 offset:16408
	ds_read_b64 v[26:27], v35 offset:16408
	s_waitcnt lgkmcnt(0)
	v_add_co_u32_e64 v24, s[62:63], v26, v24
	v_addc_co_u32_e64 v25, s[62:63], v27, v25, s[62:63]
	ds_write_b64 v35, v[24:25] offset:16408
.LBB0_283:                              ;   in Loop: Header=BB0_53 Depth=1
	s_or_b64 exec, exec, s[68:69]
	s_waitcnt lgkmcnt(0)
	s_barrier
	s_and_saveexec_b64 s[68:69], s[52:53]
	s_cbranch_execz .LBB0_285
; %bb.284:                              ;   in Loop: Header=BB0_53 Depth=1
	ds_read_b64 v[24:25], v38 offset:16408
	ds_read_b64 v[26:27], v37 offset:16408
	s_waitcnt lgkmcnt(0)
	v_add_co_u32_e64 v24, s[62:63], v26, v24
	v_addc_co_u32_e64 v25, s[62:63], v27, v25, s[62:63]
	ds_write_b64 v37, v[24:25] offset:16408
.LBB0_285:                              ;   in Loop: Header=BB0_53 Depth=1
	;; [unrolled: 13-line block ×5, first 2 shown]
	s_or_b64 exec, exec, s[68:69]
	s_waitcnt lgkmcnt(0)
	s_barrier
	s_and_saveexec_b64 s[68:69], s[60:61]
	s_cbranch_execz .LBB0_293
; %bb.292:                              ;   in Loop: Header=BB0_53 Depth=1
	ds_read2st64_b64 v[24:27], v54 offset0:33 offset1:34
	s_waitcnt lgkmcnt(0)
	v_add_co_u32_e64 v24, s[62:63], v26, v24
	v_addc_co_u32_e64 v25, s[62:63], v27, v25, s[62:63]
	ds_write_b64 v30, v[24:25] offset:17432
.LBB0_293:                              ;   in Loop: Header=BB0_53 Depth=1
	s_or_b64 exec, exec, s[68:69]
	s_waitcnt lgkmcnt(0)
	s_barrier
	s_barrier
	s_and_saveexec_b64 s[68:69], s[60:61]
	s_cbranch_execz .LBB0_295
; %bb.294:                              ;   in Loop: Header=BB0_53 Depth=1
	ds_read_b64 v[24:25], v30 offset:17432
	v_mov_b32_e32 v31, v30
	s_waitcnt lgkmcnt(0)
	ds_write_b64 v30, v[24:25] offset:17440
	s_waitcnt lgkmcnt(0)
	ds_write_b64 v30, v[30:31] offset:17432
	s_waitcnt lgkmcnt(0)
	ds_read2st64_b64 v[24:27], v54 offset0:33 offset1:34
	s_waitcnt lgkmcnt(0)
	v_add_co_u32_e64 v24, s[62:63], v26, v24
	v_addc_co_u32_e64 v25, s[62:63], v27, v25, s[62:63]
	ds_write2st64_b64 v54, v[26:27], v[24:25] offset0:33 offset1:34
.LBB0_295:                              ;   in Loop: Header=BB0_53 Depth=1
	s_or_b64 exec, exec, s[68:69]
	s_waitcnt lgkmcnt(0)
	s_barrier
	s_and_saveexec_b64 s[68:69], s[58:59]
	s_cbranch_execz .LBB0_297
; %bb.296:                              ;   in Loop: Header=BB0_53 Depth=1
	ds_read_b64 v[24:25], v43 offset:16408
	ds_read_b64 v[26:27], v44 offset:16408
	s_waitcnt lgkmcnt(1)
	ds_write_b64 v44, v[24:25] offset:16408
	s_waitcnt lgkmcnt(1)
	v_add_co_u32_e64 v24, s[62:63], v24, v26
	v_addc_co_u32_e64 v25, s[62:63], v25, v27, s[62:63]
	ds_write_b64 v43, v[24:25] offset:16408
.LBB0_297:                              ;   in Loop: Header=BB0_53 Depth=1
	s_or_b64 exec, exec, s[68:69]
	s_waitcnt lgkmcnt(0)
	s_barrier
	s_and_saveexec_b64 s[68:69], s[56:57]
	s_cbranch_execz .LBB0_299
; %bb.298:                              ;   in Loop: Header=BB0_53 Depth=1
	ds_read_b64 v[24:25], v41 offset:16408
	ds_read_b64 v[26:27], v42 offset:16408
	s_waitcnt lgkmcnt(1)
	ds_write_b64 v42, v[24:25] offset:16408
	s_waitcnt lgkmcnt(1)
	v_add_co_u32_e64 v24, s[62:63], v24, v26
	v_addc_co_u32_e64 v25, s[62:63], v25, v27, s[62:63]
	ds_write_b64 v41, v[24:25] offset:16408
.LBB0_299:                              ;   in Loop: Header=BB0_53 Depth=1
	;; [unrolled: 15-line block ×5, first 2 shown]
	s_or_b64 exec, exec, s[68:69]
	s_waitcnt lgkmcnt(0)
	s_barrier
	s_and_saveexec_b64 s[68:69], s[48:49]
	s_cbranch_execz .LBB0_307
; %bb.306:                              ;   in Loop: Header=BB0_53 Depth=1
	ds_read_b128 v[24:27], v51
	s_waitcnt lgkmcnt(0)
	v_add_co_u32_e64 v28, s[62:63], v26, v24
	v_addc_co_u32_e64 v29, s[62:63], v27, v25, s[62:63]
	ds_write_b128 v51, v[26:29]
.LBB0_307:                              ;   in Loop: Header=BB0_53 Depth=1
	s_or_b64 exec, exec, s[68:69]
	s_waitcnt lgkmcnt(0)
	s_barrier
	s_barrier
	ds_read_b64 v[24:25], v30 offset:17440
	s_waitcnt lgkmcnt(0)
	s_barrier
	ds_read_b64 v[26:27], v34
	s_waitcnt lgkmcnt(0)
	ds_write_b64 v33, v[26:27] offset:24
	s_and_saveexec_b64 s[62:63], s[60:61]
	s_cbranch_execz .LBB0_309
; %bb.308:                              ;   in Loop: Header=BB0_53 Depth=1
	ds_write_b64 v30, v[24:25] offset:16408
.LBB0_309:                              ;   in Loop: Header=BB0_53 Depth=1
	s_or_b64 exec, exec, s[62:63]
	s_waitcnt lgkmcnt(0)
	s_barrier
	s_and_saveexec_b64 s[62:63], s[54:55]
	s_xor_b64 s[62:63], exec, s[62:63]
	s_cbranch_execz .LBB0_311
; %bb.310:                              ;   in Loop: Header=BB0_53 Depth=1
	buffer_load_dword v24, off, s[76:79], 0 offset:4 ; 4-byte Folded Reload
	s_waitcnt vmcnt(0)
	ds_read_u16 v24, v24 offset:4096
	ds_read_u16 v25, v45 offset:2
	s_waitcnt lgkmcnt(0)
	v_add_u16_e32 v24, v25, v24
	ds_write_b16 v45, v24 offset:2
.LBB0_311:                              ;   in Loop: Header=BB0_53 Depth=1
	s_or_b64 exec, exec, s[62:63]
	s_waitcnt lgkmcnt(0)
	s_barrier
	s_and_saveexec_b64 s[62:63], s[56:57]
	s_cbranch_execz .LBB0_313
; %bb.312:                              ;   in Loop: Header=BB0_53 Depth=1
	ds_read_u16 v24, v127 offset:16382
	ds_read_u16 v25, v32 offset:16382
	s_waitcnt lgkmcnt(0)
	v_add_u16_e32 v24, v25, v24
	ds_write_b16 v32, v24 offset:16382
.LBB0_313:                              ;   in Loop: Header=BB0_53 Depth=1
	s_or_b64 exec, exec, s[62:63]
	s_waitcnt lgkmcnt(0)
	s_barrier
	s_and_saveexec_b64 s[62:63], s[58:59]
	s_cbranch_execz .LBB0_315
; %bb.314:                              ;   in Loop: Header=BB0_53 Depth=1
	buffer_load_dword v24, off, s[76:79], 0 ; 4-byte Folded Reload
	s_waitcnt vmcnt(0)
	ds_read_u16 v24, v24 offset:16382
	ds_read_u16 v25, v52 offset:16382
	s_waitcnt lgkmcnt(0)
	v_add_u16_e32 v24, v25, v24
	ds_write_b16 v52, v24 offset:16382
.LBB0_315:                              ;   in Loop: Header=BB0_53 Depth=1
	s_or_b64 exec, exec, s[62:63]
	s_waitcnt lgkmcnt(0)
	s_barrier
	s_and_saveexec_b64 s[62:63], s[60:61]
	s_cbranch_execz .LBB0_317
; %bb.316:                              ;   in Loop: Header=BB0_53 Depth=1
	ds_read_u16 v24, v30 offset:16398
	ds_read_u16 v25, v30 offset:16414
	s_waitcnt lgkmcnt(0)
	v_add_u32_e32 v24, v25, v24
	ds_write_b16 v30, v24 offset:16414
.LBB0_317:                              ;   in Loop: Header=BB0_53 Depth=1
	s_or_b64 exec, exec, s[62:63]
	s_waitcnt lgkmcnt(0)
	s_barrier
	s_barrier
	s_and_saveexec_b64 s[62:63], s[60:61]
	s_cbranch_execz .LBB0_319
; %bb.318:                              ;   in Loop: Header=BB0_53 Depth=1
	ds_read_u16 v24, v30 offset:16414
	s_waitcnt lgkmcnt(0)
	ds_write_b16 v30, v24 offset:17448
	s_waitcnt lgkmcnt(0)
	ds_write_b16 v30, v30 offset:16414
	s_waitcnt lgkmcnt(0)
	ds_read_u16 v24, v30 offset:16414
	ds_read_u16 v25, v30 offset:16398
	s_waitcnt lgkmcnt(1)
	ds_write_b16 v30, v24 offset:16398
	s_waitcnt lgkmcnt(1)
	v_add_u32_e32 v24, v24, v25
	ds_write_b16 v30, v24 offset:16414
.LBB0_319:                              ;   in Loop: Header=BB0_53 Depth=1
	s_or_b64 exec, exec, s[62:63]
	s_waitcnt lgkmcnt(0)
	s_barrier
	s_and_saveexec_b64 s[62:63], s[58:59]
	s_cbranch_execz .LBB0_321
; %bb.320:                              ;   in Loop: Header=BB0_53 Depth=1
	buffer_load_dword v26, off, s[76:79], 0 ; 4-byte Folded Reload
	ds_read_u16 v24, v52 offset:16382
	s_waitcnt vmcnt(0)
	ds_read_u16 v25, v26 offset:16382
	s_waitcnt lgkmcnt(1)
	ds_write_b16 v26, v24 offset:16382
	s_waitcnt lgkmcnt(1)
	v_add_u16_e32 v24, v24, v25
	ds_write_b16 v52, v24 offset:16382
.LBB0_321:                              ;   in Loop: Header=BB0_53 Depth=1
	s_or_b64 exec, exec, s[62:63]
	s_waitcnt lgkmcnt(0)
	s_barrier
	s_and_saveexec_b64 s[62:63], s[56:57]
	s_cbranch_execz .LBB0_323
; %bb.322:                              ;   in Loop: Header=BB0_53 Depth=1
	ds_read_u16 v24, v32 offset:16382
	ds_read_u16 v25, v127 offset:16382
	s_waitcnt lgkmcnt(1)
	ds_write_b16 v127, v24 offset:16382
	s_waitcnt lgkmcnt(1)
	v_add_u16_e32 v24, v24, v25
	ds_write_b16 v32, v24 offset:16382
.LBB0_323:                              ;   in Loop: Header=BB0_53 Depth=1
	s_or_b64 exec, exec, s[62:63]
	s_waitcnt lgkmcnt(0)
	s_barrier
	s_and_saveexec_b64 s[62:63], s[54:55]
	s_cbranch_execz .LBB0_52
; %bb.324:                              ;   in Loop: Header=BB0_53 Depth=1
	buffer_load_dword v26, off, s[76:79], 0 offset:4 ; 4-byte Folded Reload
	ds_read_u16 v24, v45 offset:2
	s_waitcnt vmcnt(0)
	ds_read_u16 v25, v26 offset:4096
	s_waitcnt lgkmcnt(1)
	ds_write_b16 v26, v24 offset:4096
	s_waitcnt lgkmcnt(1)
	v_add_u16_e32 v24, v24, v25
	ds_write_b16 v45, v24 offset:2
	s_branch .LBB0_52
.LBB0_325:
	s_and_saveexec_b64 s[48:49], vcc
	s_cbranch_execnz .LBB0_349
; %bb.326:
	s_or_b64 exec, exec, s[48:49]
	s_and_saveexec_b64 s[48:49], s[0:1]
	s_cbranch_execnz .LBB0_350
.LBB0_327:
	s_or_b64 exec, exec, s[48:49]
	s_and_saveexec_b64 s[0:1], s[2:3]
	s_cbranch_execnz .LBB0_351
.LBB0_328:
	s_or_b64 exec, exec, s[0:1]
	s_and_saveexec_b64 s[0:1], s[4:5]
	s_cbranch_execnz .LBB0_352
.LBB0_329:
	s_or_b64 exec, exec, s[0:1]
	s_and_saveexec_b64 s[0:1], s[6:7]
	s_cbranch_execnz .LBB0_353
.LBB0_330:
	s_or_b64 exec, exec, s[0:1]
	s_and_saveexec_b64 s[0:1], s[8:9]
	s_cbranch_execnz .LBB0_354
.LBB0_331:
	s_or_b64 exec, exec, s[0:1]
	s_and_saveexec_b64 s[0:1], s[10:11]
	s_cbranch_execnz .LBB0_355
.LBB0_332:
	s_or_b64 exec, exec, s[0:1]
	s_and_saveexec_b64 s[0:1], s[12:13]
	s_cbranch_execnz .LBB0_356
.LBB0_333:
	s_or_b64 exec, exec, s[0:1]
	s_and_saveexec_b64 s[0:1], s[14:15]
	s_cbranch_execnz .LBB0_357
.LBB0_334:
	s_or_b64 exec, exec, s[0:1]
	s_and_saveexec_b64 s[0:1], s[16:17]
	s_cbranch_execnz .LBB0_358
.LBB0_335:
	s_or_b64 exec, exec, s[0:1]
	s_and_saveexec_b64 s[0:1], s[18:19]
	s_cbranch_execnz .LBB0_359
.LBB0_336:
	s_or_b64 exec, exec, s[0:1]
	s_and_saveexec_b64 s[0:1], s[20:21]
	s_cbranch_execnz .LBB0_360
.LBB0_337:
	s_or_b64 exec, exec, s[0:1]
	s_and_saveexec_b64 s[0:1], s[22:23]
	s_cbranch_execnz .LBB0_361
.LBB0_338:
	s_or_b64 exec, exec, s[0:1]
	s_and_saveexec_b64 s[0:1], s[24:25]
	s_cbranch_execnz .LBB0_362
.LBB0_339:
	s_or_b64 exec, exec, s[0:1]
	s_and_saveexec_b64 s[0:1], s[26:27]
	s_cbranch_execnz .LBB0_363
.LBB0_340:
	s_or_b64 exec, exec, s[0:1]
	s_and_saveexec_b64 s[0:1], s[28:29]
	s_cbranch_execnz .LBB0_364
.LBB0_341:
	s_or_b64 exec, exec, s[0:1]
	s_and_saveexec_b64 s[0:1], s[30:31]
	s_cbranch_execnz .LBB0_365
.LBB0_342:
	s_or_b64 exec, exec, s[0:1]
	s_and_saveexec_b64 s[0:1], s[34:35]
	s_cbranch_execnz .LBB0_366
.LBB0_343:
	s_or_b64 exec, exec, s[0:1]
	s_and_saveexec_b64 s[0:1], s[36:37]
	s_cbranch_execnz .LBB0_367
.LBB0_344:
	s_or_b64 exec, exec, s[0:1]
	s_and_saveexec_b64 s[0:1], s[38:39]
	s_cbranch_execnz .LBB0_368
.LBB0_345:
	s_or_b64 exec, exec, s[0:1]
	s_and_saveexec_b64 s[0:1], s[40:41]
	s_cbranch_execnz .LBB0_369
.LBB0_346:
	s_or_b64 exec, exec, s[0:1]
	s_and_saveexec_b64 s[0:1], s[42:43]
	s_cbranch_execnz .LBB0_370
.LBB0_347:
	s_or_b64 exec, exec, s[0:1]
	s_and_saveexec_b64 s[0:1], s[44:45]
	s_cbranch_execnz .LBB0_371
.LBB0_348:
	s_or_b64 exec, exec, s[0:1]
	s_and_saveexec_b64 s[0:1], s[46:47]
	s_cbranch_execz .LBB0_1
	s_branch .LBB0_372
.LBB0_349:
	buffer_load_dword v0, off, s[76:79], 0 offset:24 ; 4-byte Folded Reload
	s_waitcnt vmcnt(0) lgkmcnt(5)
	global_store_dword v0, v22, s[66:67]
	s_or_b64 exec, exec, s[48:49]
	s_and_saveexec_b64 s[48:49], s[0:1]
	s_cbranch_execz .LBB0_327
.LBB0_350:
	buffer_load_dword v0, off, s[76:79], 0 offset:24 ; 4-byte Folded Reload
	s_waitcnt vmcnt(0) lgkmcnt(5)
	global_store_dword v0, v23, s[66:67] offset:4
	s_or_b64 exec, exec, s[48:49]
	s_and_saveexec_b64 s[0:1], s[2:3]
	s_cbranch_execz .LBB0_328
.LBB0_351:
	buffer_load_dword v0, off, s[76:79], 0 offset:24 ; 4-byte Folded Reload
	s_waitcnt vmcnt(0) lgkmcnt(5)
	global_store_dword v0, v24, s[66:67] offset:8
	s_or_b64 exec, exec, s[0:1]
	s_and_saveexec_b64 s[0:1], s[4:5]
	s_cbranch_execz .LBB0_329
.LBB0_352:
	buffer_load_dword v0, off, s[76:79], 0 offset:24 ; 4-byte Folded Reload
	s_waitcnt vmcnt(0) lgkmcnt(5)
	global_store_dword v0, v25, s[66:67] offset:12
	s_or_b64 exec, exec, s[0:1]
	s_and_saveexec_b64 s[0:1], s[6:7]
	s_cbranch_execz .LBB0_330
.LBB0_353:
	buffer_load_dword v0, off, s[76:79], 0 offset:24 ; 4-byte Folded Reload
	s_waitcnt vmcnt(0) lgkmcnt(4)
	global_store_dword v0, v18, s[66:67] offset:16
	s_or_b64 exec, exec, s[0:1]
	s_and_saveexec_b64 s[0:1], s[8:9]
	s_cbranch_execz .LBB0_331
.LBB0_354:
	buffer_load_dword v0, off, s[76:79], 0 offset:24 ; 4-byte Folded Reload
	s_waitcnt vmcnt(0) lgkmcnt(4)
	global_store_dword v0, v19, s[66:67] offset:20
	s_or_b64 exec, exec, s[0:1]
	s_and_saveexec_b64 s[0:1], s[10:11]
	s_cbranch_execz .LBB0_332
.LBB0_355:
	buffer_load_dword v0, off, s[76:79], 0 offset:24 ; 4-byte Folded Reload
	s_waitcnt vmcnt(0) lgkmcnt(4)
	global_store_dword v0, v20, s[66:67] offset:24
	s_or_b64 exec, exec, s[0:1]
	s_and_saveexec_b64 s[0:1], s[12:13]
	s_cbranch_execz .LBB0_333
.LBB0_356:
	buffer_load_dword v0, off, s[76:79], 0 offset:24 ; 4-byte Folded Reload
	s_waitcnt vmcnt(0) lgkmcnt(4)
	global_store_dword v0, v21, s[66:67] offset:28
	s_or_b64 exec, exec, s[0:1]
	s_and_saveexec_b64 s[0:1], s[14:15]
	s_cbranch_execz .LBB0_334
.LBB0_357:
	buffer_load_dword v0, off, s[76:79], 0 offset:24 ; 4-byte Folded Reload
	s_waitcnt vmcnt(0) lgkmcnt(3)
	global_store_dword v0, v14, s[66:67] offset:32
	s_or_b64 exec, exec, s[0:1]
	s_and_saveexec_b64 s[0:1], s[16:17]
	s_cbranch_execz .LBB0_335
.LBB0_358:
	buffer_load_dword v0, off, s[76:79], 0 offset:24 ; 4-byte Folded Reload
	s_waitcnt vmcnt(0) lgkmcnt(3)
	global_store_dword v0, v15, s[66:67] offset:36
	s_or_b64 exec, exec, s[0:1]
	s_and_saveexec_b64 s[0:1], s[18:19]
	s_cbranch_execz .LBB0_336
.LBB0_359:
	buffer_load_dword v0, off, s[76:79], 0 offset:24 ; 4-byte Folded Reload
	s_waitcnt vmcnt(0) lgkmcnt(3)
	global_store_dword v0, v16, s[66:67] offset:40
	s_or_b64 exec, exec, s[0:1]
	s_and_saveexec_b64 s[0:1], s[20:21]
	s_cbranch_execz .LBB0_337
.LBB0_360:
	buffer_load_dword v0, off, s[76:79], 0 offset:24 ; 4-byte Folded Reload
	s_waitcnt vmcnt(0) lgkmcnt(3)
	global_store_dword v0, v17, s[66:67] offset:44
	s_or_b64 exec, exec, s[0:1]
	s_and_saveexec_b64 s[0:1], s[22:23]
	s_cbranch_execz .LBB0_338
.LBB0_361:
	buffer_load_dword v0, off, s[76:79], 0 offset:24 ; 4-byte Folded Reload
	s_waitcnt vmcnt(0) lgkmcnt(2)
	global_store_dword v0, v2, s[66:67] offset:48
	s_or_b64 exec, exec, s[0:1]
	s_and_saveexec_b64 s[0:1], s[24:25]
	s_cbranch_execz .LBB0_339
.LBB0_362:
	buffer_load_dword v0, off, s[76:79], 0 offset:24 ; 4-byte Folded Reload
	s_waitcnt vmcnt(0) lgkmcnt(2)
	global_store_dword v0, v3, s[66:67] offset:52
	s_or_b64 exec, exec, s[0:1]
	s_and_saveexec_b64 s[0:1], s[26:27]
	s_cbranch_execz .LBB0_340
.LBB0_363:
	buffer_load_dword v0, off, s[76:79], 0 offset:24 ; 4-byte Folded Reload
	s_waitcnt vmcnt(0) lgkmcnt(2)
	global_store_dword v0, v4, s[66:67] offset:56
	s_or_b64 exec, exec, s[0:1]
	s_and_saveexec_b64 s[0:1], s[28:29]
	s_cbranch_execz .LBB0_341
.LBB0_364:
	buffer_load_dword v0, off, s[76:79], 0 offset:24 ; 4-byte Folded Reload
	s_waitcnt vmcnt(0) lgkmcnt(2)
	global_store_dword v0, v5, s[66:67] offset:60
	s_or_b64 exec, exec, s[0:1]
	s_and_saveexec_b64 s[0:1], s[30:31]
	s_cbranch_execz .LBB0_342
.LBB0_365:
	buffer_load_dword v0, off, s[76:79], 0 offset:24 ; 4-byte Folded Reload
	s_waitcnt vmcnt(0) lgkmcnt(1)
	global_store_dword v0, v6, s[66:67] offset:64
	s_or_b64 exec, exec, s[0:1]
	s_and_saveexec_b64 s[0:1], s[34:35]
	s_cbranch_execz .LBB0_343
.LBB0_366:
	buffer_load_dword v0, off, s[76:79], 0 offset:24 ; 4-byte Folded Reload
	s_waitcnt vmcnt(0) lgkmcnt(1)
	global_store_dword v0, v7, s[66:67] offset:68
	s_or_b64 exec, exec, s[0:1]
	s_and_saveexec_b64 s[0:1], s[36:37]
	s_cbranch_execz .LBB0_344
.LBB0_367:
	buffer_load_dword v0, off, s[76:79], 0 offset:24 ; 4-byte Folded Reload
	s_waitcnt vmcnt(0) lgkmcnt(1)
	global_store_dword v0, v8, s[66:67] offset:72
	s_or_b64 exec, exec, s[0:1]
	s_and_saveexec_b64 s[0:1], s[38:39]
	s_cbranch_execz .LBB0_345
.LBB0_368:
	buffer_load_dword v0, off, s[76:79], 0 offset:24 ; 4-byte Folded Reload
	s_waitcnt vmcnt(0) lgkmcnt(1)
	global_store_dword v0, v9, s[66:67] offset:76
	s_or_b64 exec, exec, s[0:1]
	s_and_saveexec_b64 s[0:1], s[40:41]
	s_cbranch_execz .LBB0_346
.LBB0_369:
	buffer_load_dword v0, off, s[76:79], 0 offset:24 ; 4-byte Folded Reload
	s_waitcnt vmcnt(0) lgkmcnt(0)
	global_store_dword v0, v10, s[66:67] offset:80
	s_or_b64 exec, exec, s[0:1]
	s_and_saveexec_b64 s[0:1], s[42:43]
	s_cbranch_execz .LBB0_347
.LBB0_370:
	buffer_load_dword v0, off, s[76:79], 0 offset:24 ; 4-byte Folded Reload
	s_waitcnt vmcnt(0) lgkmcnt(0)
	global_store_dword v0, v11, s[66:67] offset:84
	s_or_b64 exec, exec, s[0:1]
	s_and_saveexec_b64 s[0:1], s[44:45]
	s_cbranch_execz .LBB0_348
.LBB0_371:
	buffer_load_dword v0, off, s[76:79], 0 offset:24 ; 4-byte Folded Reload
	s_waitcnt vmcnt(0) lgkmcnt(0)
	global_store_dword v0, v12, s[66:67] offset:88
	s_or_b64 exec, exec, s[0:1]
	s_and_saveexec_b64 s[0:1], s[46:47]
	s_cbranch_execz .LBB0_1
.LBB0_372:
	buffer_load_dword v0, off, s[76:79], 0 offset:24 ; 4-byte Folded Reload
	s_waitcnt vmcnt(0) lgkmcnt(0)
	global_store_dword v0, v13, s[66:67] offset:92
	s_endpgm
	.section	.rodata,"a",@progbits
	.p2align	6, 0x0
	.amdhsa_kernel SortSinglePassKernel
		.amdhsa_group_segment_fixed_size 17456
		.amdhsa_private_segment_fixed_size 32
		.amdhsa_kernarg_size 28
		.amdhsa_user_sgpr_count 6
		.amdhsa_user_sgpr_private_segment_buffer 1
		.amdhsa_user_sgpr_dispatch_ptr 0
		.amdhsa_user_sgpr_queue_ptr 0
		.amdhsa_user_sgpr_kernarg_segment_ptr 1
		.amdhsa_user_sgpr_dispatch_id 0
		.amdhsa_user_sgpr_flat_scratch_init 0
		.amdhsa_user_sgpr_kernarg_preload_length 0
		.amdhsa_user_sgpr_kernarg_preload_offset 0
		.amdhsa_user_sgpr_private_segment_size 0
		.amdhsa_uses_dynamic_stack 0
		.amdhsa_system_sgpr_private_segment_wavefront_offset 1
		.amdhsa_system_sgpr_workgroup_id_x 1
		.amdhsa_system_sgpr_workgroup_id_y 0
		.amdhsa_system_sgpr_workgroup_id_z 0
		.amdhsa_system_sgpr_workgroup_info 0
		.amdhsa_system_vgpr_workitem_id 0
		.amdhsa_next_free_vgpr 128
		.amdhsa_next_free_sgpr 80
		.amdhsa_accum_offset 128
		.amdhsa_reserve_vcc 1
		.amdhsa_reserve_flat_scratch 0
		.amdhsa_float_round_mode_32 0
		.amdhsa_float_round_mode_16_64 0
		.amdhsa_float_denorm_mode_32 3
		.amdhsa_float_denorm_mode_16_64 3
		.amdhsa_dx10_clamp 1
		.amdhsa_ieee_mode 1
		.amdhsa_fp16_overflow 0
		.amdhsa_tg_split 0
		.amdhsa_exception_fp_ieee_invalid_op 0
		.amdhsa_exception_fp_denorm_src 0
		.amdhsa_exception_fp_ieee_div_zero 0
		.amdhsa_exception_fp_ieee_overflow 0
		.amdhsa_exception_fp_ieee_underflow 0
		.amdhsa_exception_fp_ieee_inexact 0
		.amdhsa_exception_int_div_zero 0
	.end_amdhsa_kernel
	.text
.Lfunc_end0:
	.size	SortSinglePassKernel, .Lfunc_end0-SortSinglePassKernel
                                        ; -- End function
	.section	.AMDGPU.csdata,"",@progbits
; Kernel info:
; codeLenInByte = 18200
; NumSgprs: 84
; NumVgprs: 128
; NumAgprs: 0
; TotalNumVgprs: 128
; ScratchSize: 32
; MemoryBound: 0
; FloatMode: 240
; IeeeMode: 1
; LDSByteSize: 17456 bytes/workgroup (compile time only)
; SGPRBlocks: 10
; VGPRBlocks: 15
; NumSGPRsForWavesPerEU: 84
; NumVGPRsForWavesPerEU: 128
; AccumOffset: 128
; Occupancy: 4
; WaveLimiterHint : 0
; COMPUTE_PGM_RSRC2:SCRATCH_EN: 1
; COMPUTE_PGM_RSRC2:USER_SGPR: 6
; COMPUTE_PGM_RSRC2:TRAP_HANDLER: 0
; COMPUTE_PGM_RSRC2:TGID_X_EN: 1
; COMPUTE_PGM_RSRC2:TGID_Y_EN: 0
; COMPUTE_PGM_RSRC2:TGID_Z_EN: 0
; COMPUTE_PGM_RSRC2:TIDIG_COMP_CNT: 0
; COMPUTE_PGM_RSRC3_GFX90A:ACCUM_OFFSET: 31
; COMPUTE_PGM_RSRC3_GFX90A:TG_SPLIT: 0
	.text
	.protected	SortSinglePassKVKernel  ; -- Begin function SortSinglePassKVKernel
	.globl	SortSinglePassKVKernel
	.p2align	8
	.type	SortSinglePassKVKernel,@function
SortSinglePassKVKernel:                 ; @SortSinglePassKVKernel
; %bb.0:
	s_mov_b64 s[82:83], s[2:3]
	s_mov_b64 s[80:81], s[0:1]
	s_add_u32 s80, s80, s7
	s_addc_u32 s81, s81, 0
	s_cmp_lg_u32 s6, 0
	s_cbranch_scc0 .LBB1_2
.LBB1_1:
	s_endpgm
.LBB1_2:
	s_load_dwordx4 s[68:71], s[4:5], 0x20
	s_load_dwordx8 s[60:67], s[4:5], 0x0
	v_mul_u32_u24_e32 v1, 24, v0
	v_mov_b32_e32 v3, -1
	v_lshlrev_b32_e32 v56, 2, v1
	s_waitcnt lgkmcnt(0)
	v_cmp_gt_i32_e32 vcc, s68, v1
	v_mov_b32_e32 v2, -1
	v_mov_b32_e32 v10, -1
	s_and_saveexec_b64 s[0:1], vcc
	s_cbranch_execz .LBB1_4
; %bb.3:
	global_load_dword v2, v56, s[60:61]
	global_load_dword v10, v56, s[62:63]
.LBB1_4:
	s_or_b64 exec, exec, s[0:1]
	v_or_b32_e32 v4, 1, v1
	v_add_u32_e32 v57, 0x3000, v56
	v_cmp_gt_i32_e64 s[0:1], s68, v4
	v_mov_b32_e32 v11, -1
	s_waitcnt vmcnt(0)
	ds_write2st64_b32 v56, v2, v10 offset1:48
	s_and_saveexec_b64 s[2:3], s[0:1]
	s_cbranch_execz .LBB1_6
; %bb.5:
	global_load_dword v3, v56, s[60:61] offset:4
	global_load_dword v11, v56, s[62:63] offset:4
.LBB1_6:
	s_or_b64 exec, exec, s[2:3]
	v_or_b32_e32 v4, 2, v1
	v_cmp_gt_i32_e64 s[2:3], s68, v4
	v_mov_b32_e32 v5, -1
	v_mov_b32_e32 v4, -1
	v_mov_b32_e32 v12, -1
	s_waitcnt vmcnt(1)
	ds_write_b32 v56, v3 offset:4
	s_waitcnt vmcnt(0)
	ds_write_b32 v57, v11 offset:4
	s_and_saveexec_b64 s[4:5], s[2:3]
	s_cbranch_execz .LBB1_8
; %bb.7:
	global_load_dword v4, v56, s[60:61] offset:8
	global_load_dword v12, v56, s[62:63] offset:8
.LBB1_8:
	s_or_b64 exec, exec, s[4:5]
	v_or_b32_e32 v6, 3, v1
	v_cmp_gt_i32_e64 s[4:5], s68, v6
	v_mov_b32_e32 v13, -1
	s_waitcnt vmcnt(1)
	ds_write_b32 v56, v4 offset:8
	s_waitcnt vmcnt(0)
	ds_write_b32 v57, v12 offset:8
	s_and_saveexec_b64 s[6:7], s[4:5]
	s_cbranch_execz .LBB1_10
; %bb.9:
	global_load_dword v5, v56, s[60:61] offset:12
	global_load_dword v13, v56, s[62:63] offset:12
.LBB1_10:
	s_or_b64 exec, exec, s[6:7]
	v_or_b32_e32 v6, 4, v1
	v_cmp_gt_i32_e64 s[6:7], s68, v6
	v_mov_b32_e32 v7, -1
	v_mov_b32_e32 v6, -1
	v_mov_b32_e32 v18, -1
	s_waitcnt vmcnt(1)
	ds_write_b32 v56, v5 offset:12
	s_waitcnt vmcnt(0)
	ds_write_b32 v57, v13 offset:12
	s_and_saveexec_b64 s[8:9], s[6:7]
	s_cbranch_execz .LBB1_12
; %bb.11:
	global_load_dword v6, v56, s[60:61] offset:16
	global_load_dword v18, v56, s[62:63] offset:16
.LBB1_12:
	s_or_b64 exec, exec, s[8:9]
	v_or_b32_e32 v8, 5, v1
	v_cmp_gt_i32_e64 s[8:9], s68, v8
	v_mov_b32_e32 v19, -1
	s_waitcnt vmcnt(1)
	ds_write_b32 v56, v6 offset:16
	s_waitcnt vmcnt(0)
	ds_write_b32 v57, v18 offset:16
	;; [unrolled: 30-line block ×3, first 2 shown]
	s_and_saveexec_b64 s[14:15], s[12:13]
	s_cbranch_execz .LBB1_18
; %bb.17:
	global_load_dword v9, v56, s[60:61] offset:28
	global_load_dword v21, v56, s[62:63] offset:28
.LBB1_18:
	s_or_b64 exec, exec, s[14:15]
	v_add_u32_e32 v14, 8, v1
	v_cmp_gt_i32_e64 s[14:15], s68, v14
	v_mov_b32_e32 v15, -1
	v_mov_b32_e32 v14, -1
	v_mov_b32_e32 v26, -1
	s_waitcnt vmcnt(1)
	ds_write_b32 v56, v9 offset:28
	s_waitcnt vmcnt(0)
	ds_write_b32 v57, v21 offset:28
	s_and_saveexec_b64 s[16:17], s[14:15]
	s_cbranch_execz .LBB1_20
; %bb.19:
	global_load_dword v14, v56, s[60:61] offset:32
	global_load_dword v26, v56, s[62:63] offset:32
.LBB1_20:
	s_or_b64 exec, exec, s[16:17]
	v_add_u32_e32 v16, 9, v1
	v_cmp_gt_i32_e64 s[16:17], s68, v16
	v_mov_b32_e32 v27, -1
	s_waitcnt vmcnt(1)
	ds_write_b32 v56, v14 offset:32
	s_waitcnt vmcnt(0)
	ds_write_b32 v57, v26 offset:32
	s_and_saveexec_b64 s[18:19], s[16:17]
	s_cbranch_execz .LBB1_22
; %bb.21:
	global_load_dword v15, v56, s[60:61] offset:36
	global_load_dword v27, v56, s[62:63] offset:36
.LBB1_22:
	s_or_b64 exec, exec, s[18:19]
	v_add_u32_e32 v16, 10, v1
	v_cmp_gt_i32_e64 s[18:19], s68, v16
	v_mov_b32_e32 v17, -1
	v_mov_b32_e32 v16, -1
	v_mov_b32_e32 v28, -1
	s_waitcnt vmcnt(1)
	ds_write_b32 v56, v15 offset:36
	s_waitcnt vmcnt(0)
	ds_write_b32 v57, v27 offset:36
	s_and_saveexec_b64 s[20:21], s[18:19]
	s_cbranch_execz .LBB1_24
; %bb.23:
	global_load_dword v16, v56, s[60:61] offset:40
	global_load_dword v28, v56, s[62:63] offset:40
.LBB1_24:
	s_or_b64 exec, exec, s[20:21]
	v_add_u32_e32 v22, 11, v1
	v_cmp_gt_i32_e64 s[20:21], s68, v22
	v_mov_b32_e32 v29, -1
	s_waitcnt vmcnt(1)
	ds_write_b32 v56, v16 offset:40
	s_waitcnt vmcnt(0)
	ds_write_b32 v57, v28 offset:40
	;; [unrolled: 30-line block ×8, first 2 shown]
	s_and_saveexec_b64 s[48:49], s[46:47]
	s_cbranch_execz .LBB1_50
; %bb.49:
	global_load_dword v45, v56, s[60:61] offset:92
	global_load_dword v49, v56, s[62:63] offset:92
.LBB1_50:
	s_or_b64 exec, exec, s[48:49]
	s_cmp_lt_i32 s69, s70
	s_waitcnt vmcnt(1)
	ds_write_b32 v56, v45 offset:92
	s_waitcnt vmcnt(0)
	ds_write_b32 v57, v49 offset:92
	s_waitcnt lgkmcnt(0)
	s_barrier
	s_cbranch_scc0 .LBB1_325
; %bb.51:
	v_mov_b32_e32 v1, 0x6000
	v_lshlrev_b32_e32 v50, 1, v0
	v_mov_b32_e32 v53, 0x7000
	v_lshl_add_u32 v58, v0, 5, v1
	v_lshlrev_b32_e32 v1, 3, v0
	v_or_b32_e32 v51, 1, v50
	v_cmp_gt_u32_e64 s[48:49], 64, v0
	v_cmp_gt_u32_e64 s[50:51], 32, v0
	;; [unrolled: 1-line block ×6, first 2 shown]
	v_cmp_eq_u32_e64 s[60:61], 0, v0
	v_mul_i32_i24_e32 v52, 0xffffffe4, v0
	v_lshl_or_b32 v0, v0, 2, v53
	v_add_u32_e32 v50, 2, v50
	buffer_store_dword v0, off, s[80:83], 0 ; 4-byte Folded Spill
	v_lshlrev_b32_e32 v0, 2, v51
	s_mov_b32 s72, 0
	buffer_store_dword v0, off, s[80:83], 0 offset:4 ; 4-byte Folded Spill
	v_lshlrev_b32_e32 v0, 2, v50
	buffer_store_dword v0, off, s[80:83], 0 offset:8 ; 4-byte Folded Spill
	v_lshlrev_b32_e32 v0, 3, v51
	s_mov_b32 s73, s72
	v_lshlrev_b32_e32 v60, 4, v50
	v_lshlrev_b32_e32 v61, 4, v51
	;; [unrolled: 1-line block ×10, first 2 shown]
	buffer_store_dword v0, off, s[80:83], 0 offset:12 ; 4-byte Folded Spill
	v_lshlrev_b32_e32 v0, 3, v50
	v_pk_mov_b32 v[50:51], s[72:73], s[72:73] op_sel:[0,1]
	v_add_u32_e32 v59, 0x7020, v1
	buffer_store_dword v0, off, s[80:83], 0 offset:16 ; 4-byte Folded Spill
	s_mov_b32 s74, s72
	s_mov_b32 s75, s72
	buffer_store_dword v50, off, s[80:83], 0 offset:96 ; 4-byte Folded Spill
	s_nop 0
	buffer_store_dword v51, off, s[80:83], 0 offset:100 ; 4-byte Folded Spill
	v_pk_mov_b32 v[50:51], s[74:75], s[74:75] op_sel:[0,1]
	v_mov_b32_e32 v54, 0
	v_add_u32_e32 v75, v59, v1
	v_add_u32_e32 v0, v58, v52
	buffer_store_dword v50, off, s[80:83], 0 offset:104 ; 4-byte Folded Spill
	s_nop 0
	buffer_store_dword v51, off, s[80:83], 0 offset:108 ; 4-byte Folded Spill
	buffer_store_dword v0, off, s[80:83], 0 offset:20 ; 4-byte Folded Spill
	s_branch .LBB1_53
.LBB1_52:                               ;   in Loop: Header=BB1_53 Depth=1
	s_or_b64 exec, exec, s[62:63]
	v_lshl_or_b32 v48, v99, 3, v100
	s_waitcnt lgkmcnt(0)
	s_barrier
	s_barrier
	;; [unrolled: 1-line block ×3, first 2 shown]
	ds_read_u16 v48, v48 offset:28672
	ds_read_u16 v49, v121
	s_add_i32 s69, s33, 4
	s_cmp_ge_i32 s69, s70
	s_waitcnt lgkmcnt(0)
	v_add_u16_e32 v50, 1, v49
	v_and_b32_e32 v49, 0xffff, v49
	v_add_lshl_u32 v48, v49, v48, 2
	ds_write_b16 v121, v50
	ds_write2st64_b32 v48, v28, v44 offset1:48
	v_lshl_or_b32 v28, v102, 3, v73
	ds_read_u16 v28, v28 offset:28672
	ds_read_u16 v44, v122
	s_waitcnt lgkmcnt(0)
	v_add_u16_e32 v48, 1, v44
	v_and_b32_e32 v44, 0xffff, v44
	v_add_lshl_u32 v28, v44, v28, 2
	ds_write_b16 v122, v48
	ds_write2st64_b32 v28, v29, v45 offset1:48
	v_lshl_or_b32 v28, v103, 3, v53
	ds_read_u16 v28, v28 offset:28672
	ds_read_u16 v29, v71
	;; [unrolled: 9-line block ×14, first 2 shown]
	s_waitcnt lgkmcnt(0)
	v_add_u16_e32 v16, 1, v9
	v_and_b32_e32 v9, 0xffff, v9
	v_add_lshl_u32 v8, v9, v8, 2
	ds_write_b16 v104, v16
	ds_write2st64_b32 v8, v10, v34 offset1:48
	buffer_load_dword v8, off, s[80:83], 0 offset:88 ; 4-byte Folded Reload
	buffer_load_dword v9, off, s[80:83], 0 offset:92 ; 4-byte Folded Reload
	s_waitcnt vmcnt(0)
	v_lshl_or_b32 v8, v8, 3, v9
	ds_read_u16 v8, v8 offset:28672
	ds_read_u16 v9, v101
	s_waitcnt lgkmcnt(0)
	v_add_u16_e32 v10, 1, v9
	v_and_b32_e32 v9, 0xffff, v9
	v_add_lshl_u32 v8, v9, v8, 2
	ds_write_b16 v101, v10
	ds_write2st64_b32 v8, v11, v35 offset1:48
	buffer_load_dword v8, off, s[80:83], 0 offset:80 ; 4-byte Folded Reload
	buffer_load_dword v9, off, s[80:83], 0 offset:84 ; 4-byte Folded Reload
	s_waitcnt vmcnt(0)
	v_lshl_or_b32 v8, v8, 3, v9
	ds_read_u16 v8, v8 offset:28672
	ds_read_u16 v9, v98
	;; [unrolled: 12-line block ×9, first 2 shown]
	s_waitcnt lgkmcnt(0)
	v_add_u16_e32 v2, 1, v1
	v_and_b32_e32 v1, 0xffff, v1
	v_add_lshl_u32 v0, v1, v0, 2
	ds_write_b16 v78, v2
	ds_write2st64_b32 v0, v3, v15 offset1:48
	s_waitcnt lgkmcnt(0)
	s_barrier
	ds_read_b128 v[2:5], v56
	ds_read_b128 v[6:9], v56 offset:16
	ds_read_b128 v[14:17], v56 offset:32
	;; [unrolled: 1-line block ×3, first 2 shown]
	ds_read_b128 v[10:13], v57
	ds_read_b128 v[18:21], v57 offset:16
	ds_read_b128 v[26:29], v57 offset:32
	;; [unrolled: 1-line block ×7, first 2 shown]
	s_cbranch_scc1 .LBB1_325
.LBB1_53:                               ; =>This Inner Loop Header: Depth=1
	buffer_load_dword v0, off, s[80:83], 0 offset:96 ; 4-byte Folded Reload
	buffer_load_dword v1, off, s[80:83], 0 offset:100 ; 4-byte Folded Reload
	;; [unrolled: 1-line block ×4, first 2 shown]
	s_waitcnt vmcnt(0)
	ds_write2_b64 v58, v[0:1], v[50:51] offset1:1
	ds_write2_b64 v58, v[0:1], v[50:51] offset0:2 offset1:3
	s_waitcnt lgkmcnt(13)
	v_ashrrev_i32_e32 v0, s69, v2
	v_bfe_u32 v85, v0, 2, 2
	v_and_b32_e32 v0, 3, v0
	v_lshlrev_b32_e32 v87, 1, v0
	v_lshlrev_b32_e32 v0, 3, v85
	v_or3_b32 v84, v58, v0, v87
	ds_read_u16 v0, v84
	s_waitcnt lgkmcnt(0)
	v_add_u16_e32 v0, 1, v0
	ds_write_b16 v84, v0
	v_ashrrev_i32_e32 v0, s69, v3
	v_bfe_u32 v79, v0, 2, 2
	v_and_b32_e32 v0, 3, v0
	v_lshlrev_b32_e32 v82, 1, v0
	v_lshlrev_b32_e32 v0, 3, v79
	v_or3_b32 v81, v58, v0, v82
	ds_read_u16 v0, v81
	s_waitcnt lgkmcnt(0)
	v_add_u16_e32 v0, 1, v0
	ds_write_b16 v81, v0
	;; [unrolled: 10-line block ×14, first 2 shown]
	v_ashrrev_i32_e32 v0, s69, v24
	v_bfe_u32 v1, v0, 2, 2
	v_and_b32_e32 v0, 3, v0
	v_lshlrev_b32_e32 v50, 1, v0
	v_lshlrev_b32_e32 v0, 3, v1
	v_or3_b32 v92, v58, v0, v50
	ds_read_u16 v0, v92
	buffer_store_dword v1, off, s[80:83], 0 offset:88 ; 4-byte Folded Spill
	buffer_store_dword v50, off, s[80:83], 0 offset:92 ; 4-byte Folded Spill
	s_waitcnt lgkmcnt(0)
	v_add_u16_e32 v0, 1, v0
	ds_write_b16 v92, v0
	v_ashrrev_i32_e32 v0, s69, v25
	v_bfe_u32 v1, v0, 2, 2
	v_and_b32_e32 v0, 3, v0
	v_lshlrev_b32_e32 v50, 1, v0
	v_lshlrev_b32_e32 v0, 3, v1
	v_or3_b32 v89, v58, v0, v50
	ds_read_u16 v0, v89
	buffer_store_dword v1, off, s[80:83], 0 offset:80 ; 4-byte Folded Spill
	buffer_store_dword v50, off, s[80:83], 0 offset:84 ; 4-byte Folded Spill
	s_waitcnt lgkmcnt(0)
	v_add_u16_e32 v0, 1, v0
	ds_write_b16 v89, v0
	;; [unrolled: 12-line block ×9, first 2 shown]
	v_ashrrev_i32_e32 v0, s69, v45
	v_bfe_u32 v122, v0, 2, 2
	v_and_b32_e32 v0, 3, v0
	v_lshlrev_b32_e32 v123, 1, v0
	v_lshlrev_b32_e32 v0, 3, v122
	v_or3_b32 v50, v58, v0, v123
	ds_read_u16 v0, v50
	s_waitcnt lgkmcnt(0)
	v_add_u16_e32 v0, 1, v0
	ds_write_b16 v50, v0
	s_waitcnt lgkmcnt(0)
	s_barrier
	ds_read_b64 v[0:1], v58
	s_waitcnt lgkmcnt(0)
	ds_write_b64 v59, v[0:1]
	s_waitcnt lgkmcnt(0)
	s_barrier
	s_and_saveexec_b64 s[76:77], s[48:49]
	s_cbranch_execz .LBB1_55
; %bb.54:                               ;   in Loop: Header=BB1_53 Depth=1
	ds_read_b128 v[116:119], v75
	s_waitcnt lgkmcnt(0)
	v_add_co_u32_e64 v0, s[62:63], v118, v116
	v_addc_co_u32_e64 v1, s[62:63], v119, v117, s[62:63]
	ds_write_b64 v75, v[0:1] offset:8
.LBB1_55:                               ;   in Loop: Header=BB1_53 Depth=1
	s_or_b64 exec, exec, s[76:77]
	s_waitcnt lgkmcnt(0)
	s_barrier
	s_and_saveexec_b64 s[76:77], s[50:51]
	s_cbranch_execz .LBB1_57
; %bb.56:                               ;   in Loop: Header=BB1_53 Depth=1
	ds_read_b64 v[0:1], v61 offset:28696
	ds_read_b64 v[116:117], v60 offset:28696
	s_waitcnt lgkmcnt(0)
	v_add_co_u32_e64 v0, s[62:63], v116, v0
	v_addc_co_u32_e64 v1, s[62:63], v117, v1, s[62:63]
	ds_write_b64 v60, v[0:1] offset:28696
.LBB1_57:                               ;   in Loop: Header=BB1_53 Depth=1
	s_or_b64 exec, exec, s[76:77]
	s_waitcnt lgkmcnt(0)
	s_barrier
	s_and_saveexec_b64 s[76:77], s[52:53]
	s_cbranch_execz .LBB1_59
; %bb.58:                               ;   in Loop: Header=BB1_53 Depth=1
	ds_read_b64 v[0:1], v63 offset:28696
	ds_read_b64 v[116:117], v62 offset:28696
	s_waitcnt lgkmcnt(0)
	v_add_co_u32_e64 v0, s[62:63], v116, v0
	v_addc_co_u32_e64 v1, s[62:63], v117, v1, s[62:63]
	ds_write_b64 v62, v[0:1] offset:28696
.LBB1_59:                               ;   in Loop: Header=BB1_53 Depth=1
	;; [unrolled: 13-line block ×5, first 2 shown]
	s_or_b64 exec, exec, s[76:77]
	v_add_u32_e64 v77, 24, 0
	s_waitcnt lgkmcnt(0)
	s_barrier
	s_and_saveexec_b64 s[76:77], s[60:61]
	s_cbranch_execz .LBB1_67
; %bb.66:                               ;   in Loop: Header=BB1_53 Depth=1
	ds_read2st64_b64 v[116:119], v77 offset0:57 offset1:58
	s_waitcnt lgkmcnt(0)
	v_add_co_u32_e64 v0, s[62:63], v118, v116
	v_addc_co_u32_e64 v1, s[62:63], v119, v117, s[62:63]
	ds_write_b64 v54, v[0:1] offset:29720
.LBB1_67:                               ;   in Loop: Header=BB1_53 Depth=1
	s_or_b64 exec, exec, s[76:77]
	s_waitcnt lgkmcnt(0)
	s_barrier
	s_barrier
	s_and_saveexec_b64 s[76:77], s[60:61]
	s_cbranch_execz .LBB1_69
; %bb.68:                               ;   in Loop: Header=BB1_53 Depth=1
	ds_read_b64 v[0:1], v54 offset:29720
	v_mov_b32_e32 v55, v54
	s_waitcnt lgkmcnt(0)
	ds_write_b64 v54, v[0:1] offset:29728
	s_waitcnt lgkmcnt(0)
	ds_write_b64 v54, v[54:55] offset:29720
	s_waitcnt lgkmcnt(0)
	ds_read2st64_b64 v[116:119], v77 offset0:57 offset1:58
	s_waitcnt lgkmcnt(0)
	v_add_co_u32_e64 v0, s[62:63], v118, v116
	v_addc_co_u32_e64 v1, s[62:63], v119, v117, s[62:63]
	ds_write2st64_b64 v77, v[118:119], v[0:1] offset0:57 offset1:58
.LBB1_69:                               ;   in Loop: Header=BB1_53 Depth=1
	s_or_b64 exec, exec, s[76:77]
	s_waitcnt lgkmcnt(0)
	s_barrier
	s_and_saveexec_b64 s[76:77], s[58:59]
	s_cbranch_execz .LBB1_71
; %bb.70:                               ;   in Loop: Header=BB1_53 Depth=1
	ds_read_b64 v[0:1], v68 offset:28696
	ds_read_b64 v[116:117], v69 offset:28696
	s_waitcnt lgkmcnt(1)
	ds_write_b64 v69, v[0:1] offset:28696
	s_waitcnt lgkmcnt(1)
	v_add_co_u32_e64 v0, s[62:63], v0, v116
	v_addc_co_u32_e64 v1, s[62:63], v1, v117, s[62:63]
	ds_write_b64 v68, v[0:1] offset:28696
.LBB1_71:                               ;   in Loop: Header=BB1_53 Depth=1
	s_or_b64 exec, exec, s[76:77]
	s_waitcnt lgkmcnt(0)
	s_barrier
	s_and_saveexec_b64 s[76:77], s[56:57]
	s_cbranch_execz .LBB1_73
; %bb.72:                               ;   in Loop: Header=BB1_53 Depth=1
	ds_read_b64 v[0:1], v66 offset:28696
	ds_read_b64 v[116:117], v67 offset:28696
	s_waitcnt lgkmcnt(1)
	ds_write_b64 v67, v[0:1] offset:28696
	s_waitcnt lgkmcnt(1)
	v_add_co_u32_e64 v0, s[62:63], v0, v116
	v_addc_co_u32_e64 v1, s[62:63], v1, v117, s[62:63]
	ds_write_b64 v66, v[0:1] offset:28696
.LBB1_73:                               ;   in Loop: Header=BB1_53 Depth=1
	;; [unrolled: 15-line block ×5, first 2 shown]
	s_or_b64 exec, exec, s[76:77]
	s_waitcnt lgkmcnt(0)
	s_barrier
	s_and_saveexec_b64 s[76:77], s[48:49]
	s_cbranch_execz .LBB1_81
; %bb.80:                               ;   in Loop: Header=BB1_53 Depth=1
	ds_read_b128 v[116:119], v75
	v_mov_b32_e32 v0, v122
	v_mov_b32_e32 v1, v123
	s_waitcnt lgkmcnt(0)
	v_add_co_u32_e64 v122, s[62:63], v118, v116
	v_addc_co_u32_e64 v123, s[62:63], v119, v117, s[62:63]
	v_mov_b32_e32 v120, v118
	v_mov_b32_e32 v121, v119
	ds_write_b128 v75, v[120:123]
	v_mov_b32_e32 v123, v1
	v_mov_b32_e32 v122, v0
.LBB1_81:                               ;   in Loop: Header=BB1_53 Depth=1
	s_or_b64 exec, exec, s[76:77]
	s_waitcnt lgkmcnt(0)
	s_barrier
	s_barrier
	ds_read_b64 v[0:1], v54 offset:29728
	s_waitcnt lgkmcnt(0)
	s_barrier
	ds_read_b64 v[116:117], v59
	s_waitcnt lgkmcnt(0)
	ds_write_b64 v58, v[116:117]
	s_and_saveexec_b64 s[62:63], s[60:61]
	s_cbranch_execz .LBB1_83
; %bb.82:                               ;   in Loop: Header=BB1_53 Depth=1
	ds_write_b64 v54, v[0:1] offset:28672
.LBB1_83:                               ;   in Loop: Header=BB1_53 Depth=1
	s_or_b64 exec, exec, s[62:63]
	ds_read_b64 v[0:1], v58 offset:8
	s_waitcnt lgkmcnt(0)
	ds_write_b64 v59, v[0:1]
	s_waitcnt lgkmcnt(0)
	s_barrier
	s_and_saveexec_b64 s[76:77], s[48:49]
	s_cbranch_execz .LBB1_85
; %bb.84:                               ;   in Loop: Header=BB1_53 Depth=1
	ds_read_b128 v[116:119], v75
	s_waitcnt lgkmcnt(0)
	v_add_co_u32_e64 v0, s[62:63], v118, v116
	v_addc_co_u32_e64 v1, s[62:63], v119, v117, s[62:63]
	ds_write_b64 v75, v[0:1] offset:8
.LBB1_85:                               ;   in Loop: Header=BB1_53 Depth=1
	s_or_b64 exec, exec, s[76:77]
	s_waitcnt lgkmcnt(0)
	s_barrier
	s_and_saveexec_b64 s[76:77], s[50:51]
	s_cbranch_execz .LBB1_87
; %bb.86:                               ;   in Loop: Header=BB1_53 Depth=1
	ds_read_b64 v[0:1], v61 offset:28696
	ds_read_b64 v[116:117], v60 offset:28696
	s_waitcnt lgkmcnt(0)
	v_add_co_u32_e64 v0, s[62:63], v116, v0
	v_addc_co_u32_e64 v1, s[62:63], v117, v1, s[62:63]
	ds_write_b64 v60, v[0:1] offset:28696
.LBB1_87:                               ;   in Loop: Header=BB1_53 Depth=1
	s_or_b64 exec, exec, s[76:77]
	s_waitcnt lgkmcnt(0)
	s_barrier
	s_and_saveexec_b64 s[76:77], s[52:53]
	s_cbranch_execz .LBB1_89
; %bb.88:                               ;   in Loop: Header=BB1_53 Depth=1
	ds_read_b64 v[0:1], v63 offset:28696
	ds_read_b64 v[116:117], v62 offset:28696
	s_waitcnt lgkmcnt(0)
	v_add_co_u32_e64 v0, s[62:63], v116, v0
	v_addc_co_u32_e64 v1, s[62:63], v117, v1, s[62:63]
	ds_write_b64 v62, v[0:1] offset:28696
.LBB1_89:                               ;   in Loop: Header=BB1_53 Depth=1
	;; [unrolled: 13-line block ×5, first 2 shown]
	s_or_b64 exec, exec, s[76:77]
	s_waitcnt lgkmcnt(0)
	s_barrier
	s_and_saveexec_b64 s[76:77], s[60:61]
	s_cbranch_execz .LBB1_97
; %bb.96:                               ;   in Loop: Header=BB1_53 Depth=1
	ds_read2st64_b64 v[116:119], v77 offset0:57 offset1:58
	s_waitcnt lgkmcnt(0)
	v_add_co_u32_e64 v0, s[62:63], v118, v116
	v_addc_co_u32_e64 v1, s[62:63], v119, v117, s[62:63]
	ds_write_b64 v54, v[0:1] offset:29720
.LBB1_97:                               ;   in Loop: Header=BB1_53 Depth=1
	s_or_b64 exec, exec, s[76:77]
	s_waitcnt lgkmcnt(0)
	s_barrier
	s_barrier
	s_and_saveexec_b64 s[76:77], s[60:61]
	s_cbranch_execz .LBB1_99
; %bb.98:                               ;   in Loop: Header=BB1_53 Depth=1
	ds_read_b64 v[0:1], v54 offset:29720
	v_mov_b32_e32 v55, v54
	s_waitcnt lgkmcnt(0)
	ds_write_b64 v54, v[0:1] offset:29728
	s_waitcnt lgkmcnt(0)
	ds_write_b64 v54, v[54:55] offset:29720
	s_waitcnt lgkmcnt(0)
	ds_read2st64_b64 v[116:119], v77 offset0:57 offset1:58
	s_waitcnt lgkmcnt(0)
	v_add_co_u32_e64 v0, s[62:63], v118, v116
	v_addc_co_u32_e64 v1, s[62:63], v119, v117, s[62:63]
	ds_write2st64_b64 v77, v[118:119], v[0:1] offset0:57 offset1:58
.LBB1_99:                               ;   in Loop: Header=BB1_53 Depth=1
	s_or_b64 exec, exec, s[76:77]
	s_waitcnt lgkmcnt(0)
	s_barrier
	s_and_saveexec_b64 s[76:77], s[58:59]
	s_cbranch_execz .LBB1_101
; %bb.100:                              ;   in Loop: Header=BB1_53 Depth=1
	ds_read_b64 v[0:1], v68 offset:28696
	ds_read_b64 v[116:117], v69 offset:28696
	s_waitcnt lgkmcnt(1)
	ds_write_b64 v69, v[0:1] offset:28696
	s_waitcnt lgkmcnt(1)
	v_add_co_u32_e64 v0, s[62:63], v0, v116
	v_addc_co_u32_e64 v1, s[62:63], v1, v117, s[62:63]
	ds_write_b64 v68, v[0:1] offset:28696
.LBB1_101:                              ;   in Loop: Header=BB1_53 Depth=1
	s_or_b64 exec, exec, s[76:77]
	s_waitcnt lgkmcnt(0)
	s_barrier
	s_and_saveexec_b64 s[76:77], s[56:57]
	s_cbranch_execz .LBB1_103
; %bb.102:                              ;   in Loop: Header=BB1_53 Depth=1
	ds_read_b64 v[0:1], v66 offset:28696
	ds_read_b64 v[116:117], v67 offset:28696
	s_waitcnt lgkmcnt(1)
	ds_write_b64 v67, v[0:1] offset:28696
	s_waitcnt lgkmcnt(1)
	v_add_co_u32_e64 v0, s[62:63], v0, v116
	v_addc_co_u32_e64 v1, s[62:63], v1, v117, s[62:63]
	ds_write_b64 v66, v[0:1] offset:28696
.LBB1_103:                              ;   in Loop: Header=BB1_53 Depth=1
	;; [unrolled: 15-line block ×5, first 2 shown]
	s_or_b64 exec, exec, s[76:77]
	s_waitcnt lgkmcnt(0)
	s_barrier
	s_and_saveexec_b64 s[76:77], s[48:49]
	s_cbranch_execz .LBB1_111
; %bb.110:                              ;   in Loop: Header=BB1_53 Depth=1
	ds_read_b128 v[116:119], v75
	s_waitcnt lgkmcnt(0)
	v_add_co_u32_e64 v120, s[62:63], v118, v116
	v_addc_co_u32_e64 v121, s[62:63], v119, v117, s[62:63]
	ds_write_b128 v75, v[118:121]
.LBB1_111:                              ;   in Loop: Header=BB1_53 Depth=1
	s_or_b64 exec, exec, s[76:77]
	s_waitcnt lgkmcnt(0)
	s_barrier
	s_barrier
	ds_read_b64 v[0:1], v54 offset:29728
	s_waitcnt lgkmcnt(0)
	s_barrier
	ds_read_b64 v[116:117], v59
	s_waitcnt lgkmcnt(0)
	ds_write_b64 v58, v[116:117] offset:8
	s_and_saveexec_b64 s[62:63], s[60:61]
	s_cbranch_execz .LBB1_113
; %bb.112:                              ;   in Loop: Header=BB1_53 Depth=1
	ds_write_b64 v54, v[0:1] offset:28680
.LBB1_113:                              ;   in Loop: Header=BB1_53 Depth=1
	s_or_b64 exec, exec, s[62:63]
	ds_read_b64 v[0:1], v58 offset:16
	s_waitcnt lgkmcnt(0)
	ds_write_b64 v59, v[0:1]
	s_waitcnt lgkmcnt(0)
	s_barrier
	s_and_saveexec_b64 s[76:77], s[48:49]
	s_cbranch_execz .LBB1_115
; %bb.114:                              ;   in Loop: Header=BB1_53 Depth=1
	ds_read_b128 v[116:119], v75
	s_waitcnt lgkmcnt(0)
	v_add_co_u32_e64 v0, s[62:63], v118, v116
	v_addc_co_u32_e64 v1, s[62:63], v119, v117, s[62:63]
	ds_write_b64 v75, v[0:1] offset:8
.LBB1_115:                              ;   in Loop: Header=BB1_53 Depth=1
	s_or_b64 exec, exec, s[76:77]
	s_waitcnt lgkmcnt(0)
	s_barrier
	s_and_saveexec_b64 s[76:77], s[50:51]
	s_cbranch_execz .LBB1_117
; %bb.116:                              ;   in Loop: Header=BB1_53 Depth=1
	ds_read_b64 v[0:1], v61 offset:28696
	ds_read_b64 v[116:117], v60 offset:28696
	s_waitcnt lgkmcnt(0)
	v_add_co_u32_e64 v0, s[62:63], v116, v0
	v_addc_co_u32_e64 v1, s[62:63], v117, v1, s[62:63]
	ds_write_b64 v60, v[0:1] offset:28696
.LBB1_117:                              ;   in Loop: Header=BB1_53 Depth=1
	s_or_b64 exec, exec, s[76:77]
	s_waitcnt lgkmcnt(0)
	s_barrier
	s_and_saveexec_b64 s[76:77], s[52:53]
	s_cbranch_execz .LBB1_119
; %bb.118:                              ;   in Loop: Header=BB1_53 Depth=1
	ds_read_b64 v[0:1], v63 offset:28696
	ds_read_b64 v[116:117], v62 offset:28696
	s_waitcnt lgkmcnt(0)
	v_add_co_u32_e64 v0, s[62:63], v116, v0
	v_addc_co_u32_e64 v1, s[62:63], v117, v1, s[62:63]
	ds_write_b64 v62, v[0:1] offset:28696
.LBB1_119:                              ;   in Loop: Header=BB1_53 Depth=1
	;; [unrolled: 13-line block ×5, first 2 shown]
	s_or_b64 exec, exec, s[76:77]
	s_waitcnt lgkmcnt(0)
	s_barrier
	s_and_saveexec_b64 s[76:77], s[60:61]
	s_cbranch_execz .LBB1_127
; %bb.126:                              ;   in Loop: Header=BB1_53 Depth=1
	ds_read2st64_b64 v[116:119], v77 offset0:57 offset1:58
	s_waitcnt lgkmcnt(0)
	v_add_co_u32_e64 v0, s[62:63], v118, v116
	v_addc_co_u32_e64 v1, s[62:63], v119, v117, s[62:63]
	ds_write_b64 v54, v[0:1] offset:29720
.LBB1_127:                              ;   in Loop: Header=BB1_53 Depth=1
	s_or_b64 exec, exec, s[76:77]
	s_waitcnt lgkmcnt(0)
	s_barrier
	s_barrier
	s_and_saveexec_b64 s[76:77], s[60:61]
	s_cbranch_execz .LBB1_129
; %bb.128:                              ;   in Loop: Header=BB1_53 Depth=1
	ds_read_b64 v[0:1], v54 offset:29720
	v_mov_b32_e32 v55, v54
	s_waitcnt lgkmcnt(0)
	ds_write_b64 v54, v[0:1] offset:29728
	s_waitcnt lgkmcnt(0)
	ds_write_b64 v54, v[54:55] offset:29720
	s_waitcnt lgkmcnt(0)
	ds_read2st64_b64 v[116:119], v77 offset0:57 offset1:58
	s_waitcnt lgkmcnt(0)
	v_add_co_u32_e64 v0, s[62:63], v118, v116
	v_addc_co_u32_e64 v1, s[62:63], v119, v117, s[62:63]
	ds_write2st64_b64 v77, v[118:119], v[0:1] offset0:57 offset1:58
.LBB1_129:                              ;   in Loop: Header=BB1_53 Depth=1
	s_or_b64 exec, exec, s[76:77]
	s_waitcnt lgkmcnt(0)
	s_barrier
	s_and_saveexec_b64 s[76:77], s[58:59]
	s_cbranch_execz .LBB1_131
; %bb.130:                              ;   in Loop: Header=BB1_53 Depth=1
	ds_read_b64 v[0:1], v68 offset:28696
	ds_read_b64 v[116:117], v69 offset:28696
	s_waitcnt lgkmcnt(1)
	ds_write_b64 v69, v[0:1] offset:28696
	s_waitcnt lgkmcnt(1)
	v_add_co_u32_e64 v0, s[62:63], v0, v116
	v_addc_co_u32_e64 v1, s[62:63], v1, v117, s[62:63]
	ds_write_b64 v68, v[0:1] offset:28696
.LBB1_131:                              ;   in Loop: Header=BB1_53 Depth=1
	s_or_b64 exec, exec, s[76:77]
	s_waitcnt lgkmcnt(0)
	s_barrier
	s_and_saveexec_b64 s[76:77], s[56:57]
	s_cbranch_execz .LBB1_133
; %bb.132:                              ;   in Loop: Header=BB1_53 Depth=1
	ds_read_b64 v[0:1], v66 offset:28696
	ds_read_b64 v[116:117], v67 offset:28696
	s_waitcnt lgkmcnt(1)
	ds_write_b64 v67, v[0:1] offset:28696
	s_waitcnt lgkmcnt(1)
	v_add_co_u32_e64 v0, s[62:63], v0, v116
	v_addc_co_u32_e64 v1, s[62:63], v1, v117, s[62:63]
	ds_write_b64 v66, v[0:1] offset:28696
.LBB1_133:                              ;   in Loop: Header=BB1_53 Depth=1
	;; [unrolled: 15-line block ×5, first 2 shown]
	s_or_b64 exec, exec, s[76:77]
	s_waitcnt lgkmcnt(0)
	s_barrier
	s_and_saveexec_b64 s[76:77], s[48:49]
	s_cbranch_execz .LBB1_141
; %bb.140:                              ;   in Loop: Header=BB1_53 Depth=1
	ds_read_b128 v[116:119], v75
	s_waitcnt lgkmcnt(0)
	v_add_co_u32_e64 v120, s[62:63], v118, v116
	v_addc_co_u32_e64 v121, s[62:63], v119, v117, s[62:63]
	ds_write_b128 v75, v[118:121]
.LBB1_141:                              ;   in Loop: Header=BB1_53 Depth=1
	s_or_b64 exec, exec, s[76:77]
	s_waitcnt lgkmcnt(0)
	s_barrier
	s_barrier
	ds_read_b64 v[0:1], v54 offset:29728
	s_waitcnt lgkmcnt(0)
	s_barrier
	ds_read_b64 v[116:117], v59
	s_waitcnt lgkmcnt(0)
	ds_write_b64 v58, v[116:117] offset:16
	s_and_saveexec_b64 s[62:63], s[60:61]
	s_cbranch_execz .LBB1_143
; %bb.142:                              ;   in Loop: Header=BB1_53 Depth=1
	ds_write_b64 v54, v[0:1] offset:28688
.LBB1_143:                              ;   in Loop: Header=BB1_53 Depth=1
	s_or_b64 exec, exec, s[62:63]
	ds_read_b64 v[0:1], v58 offset:24
	s_waitcnt lgkmcnt(0)
	ds_write_b64 v59, v[0:1]
	s_waitcnt lgkmcnt(0)
	s_barrier
	s_and_saveexec_b64 s[76:77], s[48:49]
	s_cbranch_execz .LBB1_145
; %bb.144:                              ;   in Loop: Header=BB1_53 Depth=1
	ds_read_b128 v[116:119], v75
	s_waitcnt lgkmcnt(0)
	v_add_co_u32_e64 v0, s[62:63], v118, v116
	v_addc_co_u32_e64 v1, s[62:63], v119, v117, s[62:63]
	ds_write_b64 v75, v[0:1] offset:8
.LBB1_145:                              ;   in Loop: Header=BB1_53 Depth=1
	s_or_b64 exec, exec, s[76:77]
	s_waitcnt lgkmcnt(0)
	s_barrier
	s_and_saveexec_b64 s[76:77], s[50:51]
	s_cbranch_execz .LBB1_147
; %bb.146:                              ;   in Loop: Header=BB1_53 Depth=1
	ds_read_b64 v[0:1], v61 offset:28696
	ds_read_b64 v[116:117], v60 offset:28696
	s_waitcnt lgkmcnt(0)
	v_add_co_u32_e64 v0, s[62:63], v116, v0
	v_addc_co_u32_e64 v1, s[62:63], v117, v1, s[62:63]
	ds_write_b64 v60, v[0:1] offset:28696
.LBB1_147:                              ;   in Loop: Header=BB1_53 Depth=1
	s_or_b64 exec, exec, s[76:77]
	s_waitcnt lgkmcnt(0)
	s_barrier
	s_and_saveexec_b64 s[76:77], s[52:53]
	s_cbranch_execz .LBB1_149
; %bb.148:                              ;   in Loop: Header=BB1_53 Depth=1
	ds_read_b64 v[0:1], v63 offset:28696
	ds_read_b64 v[116:117], v62 offset:28696
	s_waitcnt lgkmcnt(0)
	v_add_co_u32_e64 v0, s[62:63], v116, v0
	v_addc_co_u32_e64 v1, s[62:63], v117, v1, s[62:63]
	ds_write_b64 v62, v[0:1] offset:28696
.LBB1_149:                              ;   in Loop: Header=BB1_53 Depth=1
	;; [unrolled: 13-line block ×5, first 2 shown]
	s_or_b64 exec, exec, s[76:77]
	s_waitcnt lgkmcnt(0)
	s_barrier
	s_and_saveexec_b64 s[76:77], s[60:61]
	s_cbranch_execz .LBB1_157
; %bb.156:                              ;   in Loop: Header=BB1_53 Depth=1
	ds_read2st64_b64 v[116:119], v77 offset0:57 offset1:58
	s_waitcnt lgkmcnt(0)
	v_add_co_u32_e64 v0, s[62:63], v118, v116
	v_addc_co_u32_e64 v1, s[62:63], v119, v117, s[62:63]
	ds_write_b64 v54, v[0:1] offset:29720
.LBB1_157:                              ;   in Loop: Header=BB1_53 Depth=1
	s_or_b64 exec, exec, s[76:77]
	s_waitcnt lgkmcnt(0)
	s_barrier
	s_barrier
	s_and_saveexec_b64 s[76:77], s[60:61]
	s_cbranch_execz .LBB1_159
; %bb.158:                              ;   in Loop: Header=BB1_53 Depth=1
	ds_read_b64 v[0:1], v54 offset:29720
	v_mov_b32_e32 v55, v54
	s_waitcnt lgkmcnt(0)
	ds_write_b64 v54, v[0:1] offset:29728
	s_waitcnt lgkmcnt(0)
	ds_write_b64 v54, v[54:55] offset:29720
	s_waitcnt lgkmcnt(0)
	ds_read2st64_b64 v[116:119], v77 offset0:57 offset1:58
	s_waitcnt lgkmcnt(0)
	v_add_co_u32_e64 v0, s[62:63], v118, v116
	v_addc_co_u32_e64 v1, s[62:63], v119, v117, s[62:63]
	ds_write2st64_b64 v77, v[118:119], v[0:1] offset0:57 offset1:58
.LBB1_159:                              ;   in Loop: Header=BB1_53 Depth=1
	s_or_b64 exec, exec, s[76:77]
	s_waitcnt lgkmcnt(0)
	s_barrier
	s_and_saveexec_b64 s[76:77], s[58:59]
	s_cbranch_execz .LBB1_161
; %bb.160:                              ;   in Loop: Header=BB1_53 Depth=1
	ds_read_b64 v[0:1], v68 offset:28696
	ds_read_b64 v[116:117], v69 offset:28696
	s_waitcnt lgkmcnt(1)
	ds_write_b64 v69, v[0:1] offset:28696
	s_waitcnt lgkmcnt(1)
	v_add_co_u32_e64 v0, s[62:63], v0, v116
	v_addc_co_u32_e64 v1, s[62:63], v1, v117, s[62:63]
	ds_write_b64 v68, v[0:1] offset:28696
.LBB1_161:                              ;   in Loop: Header=BB1_53 Depth=1
	s_or_b64 exec, exec, s[76:77]
	s_waitcnt lgkmcnt(0)
	s_barrier
	s_and_saveexec_b64 s[76:77], s[56:57]
	s_cbranch_execz .LBB1_163
; %bb.162:                              ;   in Loop: Header=BB1_53 Depth=1
	ds_read_b64 v[0:1], v66 offset:28696
	ds_read_b64 v[116:117], v67 offset:28696
	s_waitcnt lgkmcnt(1)
	ds_write_b64 v67, v[0:1] offset:28696
	s_waitcnt lgkmcnt(1)
	v_add_co_u32_e64 v0, s[62:63], v0, v116
	v_addc_co_u32_e64 v1, s[62:63], v1, v117, s[62:63]
	ds_write_b64 v66, v[0:1] offset:28696
.LBB1_163:                              ;   in Loop: Header=BB1_53 Depth=1
	;; [unrolled: 15-line block ×5, first 2 shown]
	s_or_b64 exec, exec, s[76:77]
	s_waitcnt lgkmcnt(0)
	s_barrier
	s_and_saveexec_b64 s[76:77], s[48:49]
	s_cbranch_execz .LBB1_171
; %bb.170:                              ;   in Loop: Header=BB1_53 Depth=1
	ds_read_b128 v[116:119], v75
	s_waitcnt lgkmcnt(0)
	v_add_co_u32_e64 v120, s[62:63], v118, v116
	v_addc_co_u32_e64 v121, s[62:63], v119, v117, s[62:63]
	ds_write_b128 v75, v[118:121]
.LBB1_171:                              ;   in Loop: Header=BB1_53 Depth=1
	s_or_b64 exec, exec, s[76:77]
	s_waitcnt lgkmcnt(0)
	s_barrier
	s_barrier
	ds_read_b64 v[0:1], v54 offset:29728
	s_waitcnt lgkmcnt(0)
	s_barrier
	ds_read_b64 v[116:117], v59
	s_waitcnt lgkmcnt(0)
	ds_write_b64 v58, v[116:117] offset:24
	s_and_saveexec_b64 s[62:63], s[60:61]
	s_cbranch_execz .LBB1_173
; %bb.172:                              ;   in Loop: Header=BB1_53 Depth=1
	ds_write_b64 v54, v[0:1] offset:28696
.LBB1_173:                              ;   in Loop: Header=BB1_53 Depth=1
	s_or_b64 exec, exec, s[62:63]
	s_waitcnt lgkmcnt(0)
	s_barrier
	s_and_saveexec_b64 s[62:63], s[54:55]
	s_xor_b64 s[62:63], exec, s[62:63]
	s_cbranch_execz .LBB1_175
; %bb.174:                              ;   in Loop: Header=BB1_53 Depth=1
	buffer_load_dword v0, off, s[80:83], 0 offset:20 ; 4-byte Folded Reload
	buffer_load_dword v55, off, s[80:83], 0 ; 4-byte Folded Reload
	s_waitcnt vmcnt(1)
	ds_read_u16 v0, v0 offset:4096
	s_waitcnt vmcnt(0)
	ds_read_u16 v1, v55 offset:2
	s_waitcnt lgkmcnt(0)
	v_add_u16_e32 v0, v1, v0
	ds_write_b16 v55, v0 offset:2
.LBB1_175:                              ;   in Loop: Header=BB1_53 Depth=1
	s_or_b64 exec, exec, s[62:63]
	s_waitcnt lgkmcnt(0)
	s_barrier
	s_and_saveexec_b64 s[62:63], s[56:57]
	s_cbranch_execz .LBB1_177
; %bb.176:                              ;   in Loop: Header=BB1_53 Depth=1
	buffer_load_dword v0, off, s[80:83], 0 offset:4 ; 4-byte Folded Reload
	buffer_load_dword v55, off, s[80:83], 0 offset:8 ; 4-byte Folded Reload
	s_waitcnt vmcnt(1)
	ds_read_u16 v0, v0 offset:28670
	s_waitcnt vmcnt(0)
	ds_read_u16 v1, v55 offset:28670
	s_waitcnt lgkmcnt(0)
	v_add_u16_e32 v0, v1, v0
	ds_write_b16 v55, v0 offset:28670
.LBB1_177:                              ;   in Loop: Header=BB1_53 Depth=1
	s_or_b64 exec, exec, s[62:63]
	s_waitcnt lgkmcnt(0)
	s_barrier
	s_and_saveexec_b64 s[62:63], s[58:59]
	s_cbranch_execz .LBB1_179
; %bb.178:                              ;   in Loop: Header=BB1_53 Depth=1
	buffer_load_dword v0, off, s[80:83], 0 offset:12 ; 4-byte Folded Reload
	buffer_load_dword v55, off, s[80:83], 0 offset:16 ; 4-byte Folded Reload
	s_waitcnt vmcnt(1)
	ds_read_u16 v0, v0 offset:28670
	s_waitcnt vmcnt(0)
	ds_read_u16 v1, v55 offset:28670
	s_waitcnt lgkmcnt(0)
	v_add_u16_e32 v0, v1, v0
	ds_write_b16 v55, v0 offset:28670
.LBB1_179:                              ;   in Loop: Header=BB1_53 Depth=1
	s_or_b64 exec, exec, s[62:63]
	s_waitcnt lgkmcnt(0)
	s_barrier
	s_and_saveexec_b64 s[62:63], s[60:61]
	s_cbranch_execz .LBB1_181
; %bb.180:                              ;   in Loop: Header=BB1_53 Depth=1
	ds_read_u16 v0, v54 offset:28686
	ds_read_u16 v1, v54 offset:28702
	s_waitcnt lgkmcnt(0)
	v_add_u32_e32 v0, v1, v0
	ds_write_b16 v54, v0 offset:28702
.LBB1_181:                              ;   in Loop: Header=BB1_53 Depth=1
	s_or_b64 exec, exec, s[62:63]
	s_waitcnt lgkmcnt(0)
	s_barrier
	s_barrier
	s_and_saveexec_b64 s[62:63], s[60:61]
	s_cbranch_execz .LBB1_183
; %bb.182:                              ;   in Loop: Header=BB1_53 Depth=1
	ds_read_u16 v0, v54 offset:28702
	s_waitcnt lgkmcnt(0)
	ds_write_b16 v54, v0 offset:29736
	s_waitcnt lgkmcnt(0)
	ds_write_b16 v54, v54 offset:28702
	s_waitcnt lgkmcnt(0)
	ds_read_u16 v0, v54 offset:28702
	ds_read_u16 v1, v54 offset:28686
	s_waitcnt lgkmcnt(1)
	ds_write_b16 v54, v0 offset:28686
	s_waitcnt lgkmcnt(1)
	v_add_u32_e32 v0, v0, v1
	ds_write_b16 v54, v0 offset:28702
.LBB1_183:                              ;   in Loop: Header=BB1_53 Depth=1
	s_or_b64 exec, exec, s[62:63]
	s_waitcnt lgkmcnt(0)
	s_barrier
	s_and_saveexec_b64 s[62:63], s[58:59]
	s_cbranch_execz .LBB1_185
; %bb.184:                              ;   in Loop: Header=BB1_53 Depth=1
	buffer_load_dword v116, off, s[80:83], 0 offset:16 ; 4-byte Folded Reload
	buffer_load_dword v55, off, s[80:83], 0 offset:12 ; 4-byte Folded Reload
	s_waitcnt vmcnt(1)
	ds_read_u16 v0, v116 offset:28670
	s_waitcnt vmcnt(0)
	ds_read_u16 v1, v55 offset:28670
	s_waitcnt lgkmcnt(1)
	ds_write_b16 v55, v0 offset:28670
	s_waitcnt lgkmcnt(1)
	v_add_u16_e32 v0, v0, v1
	ds_write_b16 v116, v0 offset:28670
.LBB1_185:                              ;   in Loop: Header=BB1_53 Depth=1
	s_or_b64 exec, exec, s[62:63]
	s_waitcnt lgkmcnt(0)
	s_barrier
	s_and_saveexec_b64 s[62:63], s[56:57]
	s_cbranch_execz .LBB1_187
; %bb.186:                              ;   in Loop: Header=BB1_53 Depth=1
	buffer_load_dword v116, off, s[80:83], 0 offset:8 ; 4-byte Folded Reload
	buffer_load_dword v55, off, s[80:83], 0 offset:4 ; 4-byte Folded Reload
	s_waitcnt vmcnt(1)
	ds_read_u16 v0, v116 offset:28670
	s_waitcnt vmcnt(0)
	ds_read_u16 v1, v55 offset:28670
	s_waitcnt lgkmcnt(1)
	ds_write_b16 v55, v0 offset:28670
	s_waitcnt lgkmcnt(1)
	v_add_u16_e32 v0, v0, v1
	ds_write_b16 v116, v0 offset:28670
.LBB1_187:                              ;   in Loop: Header=BB1_53 Depth=1
	s_or_b64 exec, exec, s[62:63]
	s_waitcnt lgkmcnt(0)
	s_barrier
	s_and_saveexec_b64 s[62:63], s[54:55]
	s_cbranch_execz .LBB1_189
; %bb.188:                              ;   in Loop: Header=BB1_53 Depth=1
	buffer_load_dword v55, off, s[80:83], 0 ; 4-byte Folded Reload
	buffer_load_dword v116, off, s[80:83], 0 offset:20 ; 4-byte Folded Reload
	s_waitcnt vmcnt(1)
	ds_read_u16 v0, v55 offset:2
	s_waitcnt vmcnt(0)
	ds_read_u16 v1, v116 offset:4096
	s_waitcnt lgkmcnt(1)
	ds_write_b16 v116, v0 offset:4096
	s_waitcnt lgkmcnt(1)
	v_add_u16_e32 v0, v0, v1
	ds_write_b16 v55, v0 offset:2
.LBB1_189:                              ;   in Loop: Header=BB1_53 Depth=1
	s_or_b64 exec, exec, s[62:63]
	v_lshl_or_b32 v0, v85, 3, v87
	s_waitcnt lgkmcnt(0)
	s_barrier
	s_barrier
	;; [unrolled: 1-line block ×3, first 2 shown]
	ds_read_u16 v1, v84
	ds_read_u16 v0, v0 offset:28672
	v_lshl_or_b32 v79, v79, 3, v82
	v_lshl_or_b32 v73, v73, 3, v78
	;; [unrolled: 1-line block ×3, first 2 shown]
	s_waitcnt lgkmcnt(1)
	v_add_u16_e32 v55, 1, v1
	ds_write_b16 v84, v55
	ds_read_u16 v55, v81
	ds_read_u16 v79, v79 offset:28672
	v_lshl_or_b32 v84, v97, 3, v126
	v_lshl_or_b32 v87, v90, 3, v93
	;; [unrolled: 1-line block ×3, first 2 shown]
	s_waitcnt lgkmcnt(1)
	v_add_u16_e32 v82, 1, v55
	ds_write_b16 v81, v82
	ds_read_u16 v81, v74
	ds_read_u16 v73, v73 offset:28672
	v_lshl_or_b32 v82, v96, 3, v99
	v_and_b32_e32 v1, 0xffff, v1
	v_add_lshl_u32 v0, v1, v0, 2
	s_waitcnt lgkmcnt(1)
	v_add_u16_e32 v78, 1, v81
	ds_write_b16 v74, v78
	ds_read_u16 v74, v70
	ds_read_u16 v52, v52 offset:28672
	v_lshl_or_b32 v88, v114, 3, v88
	s_add_i32 s33, s69, 4
	s_waitcnt lgkmcnt(1)
	v_add_u16_e32 v71, 1, v74
	ds_write_b16 v70, v71
	ds_read_u16 v70, v125
	v_lshl_or_b32 v71, v124, 3, v127
	ds_read_u16 v71, v71 offset:28672
	s_waitcnt lgkmcnt(1)
	v_add_u16_e32 v78, 1, v70
	ds_write_b16 v125, v78
	ds_read_u16 v78, v115
	ds_read_u16 v82, v82 offset:28672
	s_waitcnt lgkmcnt(1)
	v_add_u16_e32 v85, 1, v78
	ds_write_b16 v115, v85
	ds_read_u16 v84, v84 offset:28672
	ds_read_u16 v85, v113
	s_waitcnt lgkmcnt(0)
	v_add_u16_e32 v91, 1, v85
	ds_write_b16 v113, v91
	ds_read_u16 v87, v87 offset:28672
	ds_read_u16 v91, v106
	ds_write2st64_b32 v0, v2, v10 offset1:48
	v_and_b32_e32 v0, 0xffff, v55
	v_add_lshl_u32 v0, v0, v79, 2
	s_waitcnt lgkmcnt(1)
	v_add_u16_e32 v1, 1, v91
	ds_write_b16 v106, v1
	ds_read_u16 v1, v90 offset:28672
	ds_read_u16 v2, v108
	ds_write2st64_b32 v0, v3, v11 offset1:48
	v_and_b32_e32 v0, 0xffff, v81
	v_add_lshl_u32 v0, v0, v73, 2
	ds_write2st64_b32 v0, v4, v12 offset1:48
	s_waitcnt lgkmcnt(2)
	v_add_u16_e32 v0, 1, v2
	ds_write_b16 v108, v0
	ds_read_u16 v0, v88 offset:28672
	ds_read_u16 v3, v109
	v_and_b32_e32 v4, 0xffff, v74
	v_add_lshl_u32 v4, v4, v52, 2
	ds_write2st64_b32 v4, v5, v13 offset1:48
	v_and_b32_e32 v4, 0xffff, v70
	s_waitcnt lgkmcnt(1)
	v_add_u16_e32 v5, 1, v3
	ds_write_b16 v109, v5
	v_lshl_or_b32 v5, v111, 3, v112
	ds_read_u16 v5, v5 offset:28672
	ds_read_u16 v10, v104
	v_add_lshl_u32 v4, v4, v71, 2
	ds_write2st64_b32 v4, v6, v18 offset1:48
	v_and_b32_e32 v4, 0xffff, v78
	v_add_lshl_u32 v4, v4, v82, 2
	s_waitcnt lgkmcnt(1)
	v_add_u16_e32 v6, 1, v10
	ds_write_b16 v104, v6
	v_lshl_or_b32 v6, v107, 3, v110
	ds_read_u16 v6, v6 offset:28672
	ds_read_u16 v11, v101
	ds_write2st64_b32 v4, v7, v19 offset1:48
	v_and_b32_e32 v4, 0xffff, v85
	v_add_lshl_u32 v4, v4, v84, 2
	ds_write2st64_b32 v4, v8, v20 offset1:48
	s_waitcnt lgkmcnt(2)
	v_add_u16_e32 v4, 1, v11
	ds_write_b16 v101, v4
	v_lshl_or_b32 v4, v103, 3, v105
	ds_read_u16 v4, v4 offset:28672
	ds_read_u16 v7, v98
	v_and_b32_e32 v8, 0xffff, v91
	v_add_lshl_u32 v8, v8, v87, 2
	ds_write2st64_b32 v8, v9, v21 offset1:48
	v_and_b32_e32 v2, 0xffff, v2
	s_waitcnt lgkmcnt(1)
	v_add_u16_e32 v8, 1, v7
	ds_write_b16 v98, v8
	v_lshl_or_b32 v8, v100, 3, v102
	ds_read_u16 v8, v8 offset:28672
	ds_read_u16 v9, v95
	v_add_lshl_u32 v1, v2, v1, 2
	ds_write2st64_b32 v1, v14, v26 offset1:48
	v_and_b32_e32 v1, 0xffff, v3
	v_add_lshl_u32 v0, v1, v0, 2
	s_waitcnt lgkmcnt(1)
	v_add_u16_e32 v1, 1, v9
	ds_write_b16 v95, v1
	buffer_load_dword v1, off, s[80:83], 0 offset:88 ; 4-byte Folded Reload
	buffer_load_dword v2, off, s[80:83], 0 offset:92 ; 4-byte Folded Reload
	s_waitcnt vmcnt(0)
	v_lshl_or_b32 v1, v1, 3, v2
	ds_read_u16 v1, v1 offset:28672
	ds_read_u16 v2, v92
	ds_write2st64_b32 v0, v15, v27 offset1:48
	v_and_b32_e32 v0, 0xffff, v10
	v_add_lshl_u32 v0, v0, v5, 2
	ds_write2st64_b32 v0, v16, v28 offset1:48
	s_waitcnt lgkmcnt(2)
	v_add_u16_e32 v0, 1, v2
	ds_write_b16 v92, v0
	buffer_load_dword v0, off, s[80:83], 0 offset:80 ; 4-byte Folded Reload
	buffer_load_dword v3, off, s[80:83], 0 offset:84 ; 4-byte Folded Reload
	v_and_b32_e32 v5, 0xffff, v11
	v_add_lshl_u32 v5, v5, v6, 2
	v_and_b32_e32 v2, 0xffff, v2
	v_add_lshl_u32 v1, v2, v1, 2
	s_waitcnt vmcnt(0)
	v_lshl_or_b32 v0, v0, 3, v3
	ds_read_u16 v0, v0 offset:28672
	ds_read_u16 v3, v89
	ds_write2st64_b32 v5, v17, v29 offset1:48
	v_and_b32_e32 v5, 0xffff, v7
	v_add_lshl_u32 v4, v5, v4, 2
	s_waitcnt lgkmcnt(1)
	v_add_u16_e32 v6, 1, v3
	ds_write_b16 v89, v6
	buffer_load_dword v6, off, s[80:83], 0 offset:72 ; 4-byte Folded Reload
	buffer_load_dword v7, off, s[80:83], 0 offset:76 ; 4-byte Folded Reload
	v_and_b32_e32 v3, 0xffff, v3
	v_add_lshl_u32 v0, v3, v0, 2
	s_waitcnt vmcnt(0)
	v_lshl_or_b32 v6, v6, 3, v7
	ds_read_u16 v6, v6 offset:28672
	ds_read_u16 v7, v86
	ds_write2st64_b32 v4, v22, v30 offset1:48
	v_and_b32_e32 v4, 0xffff, v9
	v_add_lshl_u32 v4, v4, v8, 2
	s_waitcnt lgkmcnt(1)
	v_add_u16_e32 v5, 1, v7
	ds_write_b16 v86, v5
	buffer_load_dword v5, off, s[80:83], 0 offset:64 ; 4-byte Folded Reload
	buffer_load_dword v8, off, s[80:83], 0 offset:68 ; 4-byte Folded Reload
	s_waitcnt vmcnt(0)
	v_lshl_or_b32 v5, v5, 3, v8
	ds_read_u16 v5, v5 offset:28672
	ds_read_u16 v8, v83
	ds_write2st64_b32 v4, v23, v31 offset1:48
	ds_write2st64_b32 v1, v24, v32 offset1:48
	s_waitcnt lgkmcnt(2)
	v_add_u16_e32 v1, 1, v8
	ds_write_b16 v83, v1
	buffer_load_dword v1, off, s[80:83], 0 offset:56 ; 4-byte Folded Reload
	buffer_load_dword v2, off, s[80:83], 0 offset:60 ; 4-byte Folded Reload
	s_waitcnt vmcnt(0)
	v_lshl_or_b32 v1, v1, 3, v2
	ds_read_u16 v1, v1 offset:28672
	ds_read_u16 v2, v80
	ds_write2st64_b32 v0, v25, v33 offset1:48
	v_and_b32_e32 v0, 0xffff, v7
	v_add_lshl_u32 v0, v0, v6, 2
	s_waitcnt lgkmcnt(1)
	v_add_u16_e32 v3, 1, v2
	ds_write_b16 v80, v3
	buffer_load_dword v3, off, s[80:83], 0 offset:48 ; 4-byte Folded Reload
	buffer_load_dword v4, off, s[80:83], 0 offset:52 ; 4-byte Folded Reload
	s_waitcnt vmcnt(0)
	v_lshl_or_b32 v3, v3, 3, v4
	ds_read_u16 v3, v3 offset:28672
	ds_read_u16 v4, v76
	ds_write2st64_b32 v0, v34, v38 offset1:48
	v_and_b32_e32 v0, 0xffff, v8
	v_add_lshl_u32 v0, v0, v5, 2
	;; [unrolled: 12-line block ×3, first 2 shown]
	ds_write2st64_b32 v0, v36, v40 offset1:48
	s_waitcnt lgkmcnt(2)
	v_add_u16_e32 v0, 1, v6
	ds_write_b16 v72, v0
	buffer_load_dword v0, off, s[80:83], 0 offset:32 ; 4-byte Folded Reload
	buffer_load_dword v1, off, s[80:83], 0 offset:36 ; 4-byte Folded Reload
	v_and_b32_e32 v2, 0xffff, v4
	v_add_lshl_u32 v2, v2, v3, 2
	s_waitcnt vmcnt(0)
	v_lshl_or_b32 v0, v0, 3, v1
	ds_read_u16 v0, v0 offset:28672
	ds_read_u16 v1, v53
	ds_write2st64_b32 v2, v37, v41 offset1:48
	v_and_b32_e32 v2, 0xffff, v6
	v_add_lshl_u32 v2, v2, v5, 2
	s_waitcnt lgkmcnt(1)
	v_add_u16_e32 v3, 1, v1
	ds_write_b16 v53, v3
	buffer_load_dword v3, off, s[80:83], 0 offset:24 ; 4-byte Folded Reload
	buffer_load_dword v4, off, s[80:83], 0 offset:28 ; 4-byte Folded Reload
	v_and_b32_e32 v1, 0xffff, v1
	v_add_lshl_u32 v0, v1, v0, 2
	s_waitcnt vmcnt(0)
	v_lshl_or_b32 v3, v3, 3, v4
	ds_read_u16 v3, v3 offset:28672
	ds_read_u16 v4, v51
	ds_write2st64_b32 v2, v42, v46 offset1:48
	s_waitcnt lgkmcnt(1)
	v_add_u16_e32 v1, 1, v4
	ds_write_b16 v51, v1
	v_lshl_or_b32 v1, v122, 3, v123
	ds_read_u16 v1, v1 offset:28672
	ds_read_u16 v2, v50
	ds_write2st64_b32 v0, v43, v47 offset1:48
	v_and_b32_e32 v0, 0xffff, v4
	v_add_lshl_u32 v0, v0, v3, 2
	ds_write2st64_b32 v0, v44, v48 offset1:48
	s_waitcnt lgkmcnt(2)
	v_add_u16_e32 v0, 1, v2
	ds_write_b16 v50, v0
	v_and_b32_e32 v0, 0xffff, v2
	v_add_lshl_u32 v0, v0, v1, 2
	ds_write2st64_b32 v0, v45, v49 offset1:48
	s_waitcnt lgkmcnt(0)
	s_barrier
	ds_read_b128 v[28:31], v56
	v_pk_mov_b32 v[0:1], s[72:73], s[72:73] op_sel:[0,1]
	v_pk_mov_b32 v[2:3], s[74:75], s[74:75] op_sel:[0,1]
	ds_write2_b64 v58, v[0:1], v[2:3] offset1:1
	ds_write2_b64 v58, v[0:1], v[2:3] offset0:2 offset1:3
	s_waitcnt lgkmcnt(2)
	v_ashrrev_i32_e32 v0, s33, v28
	v_bfe_u32 v99, v0, 2, 2
	v_and_b32_e32 v0, 3, v0
	v_lshlrev_b32_e32 v100, 1, v0
	v_lshlrev_b32_e32 v0, 3, v99
	v_or3_b32 v121, v58, v0, v100
	ds_read_u16 v0, v121
	ds_read_b128 v[24:27], v56 offset:16
	s_waitcnt lgkmcnt(1)
	v_add_u16_e32 v0, 1, v0
	ds_write_b16 v121, v0
	v_ashrrev_i32_e32 v0, s33, v29
	v_bfe_u32 v102, v0, 2, 2
	v_and_b32_e32 v0, 3, v0
	v_lshlrev_b32_e32 v73, 1, v0
	v_lshlrev_b32_e32 v0, 3, v102
	v_or3_b32 v122, v58, v0, v73
	ds_read_u16 v0, v122
	ds_read_b128 v[16:19], v56 offset:32
	s_waitcnt lgkmcnt(1)
	v_add_u16_e32 v0, 1, v0
	ds_write_b16 v122, v0
	;; [unrolled: 11-line block ×5, first 2 shown]
	v_ashrrev_i32_e32 v12, s33, v25
	v_bfe_u32 v94, v12, 2, 2
	v_and_b32_e32 v12, 3, v12
	v_lshlrev_b32_e32 v96, 1, v12
	v_lshlrev_b32_e32 v12, 3, v94
	v_or3_b32 v91, v58, v12, v96
	ds_read_u16 v12, v91
	s_waitcnt lgkmcnt(0)
	v_add_u16_e32 v12, 1, v12
	ds_write_b16 v91, v12
	v_ashrrev_i32_e32 v12, s33, v26
	v_bfe_u32 v87, v12, 2, 2
	v_and_b32_e32 v12, 3, v12
	v_lshlrev_b32_e32 v88, 1, v12
	v_lshlrev_b32_e32 v12, 3, v87
	v_or3_b32 v81, v58, v12, v88
	ds_read_u16 v12, v81
	s_waitcnt lgkmcnt(0)
	v_add_u16_e32 v12, 1, v12
	ds_write_b16 v81, v12
	;; [unrolled: 10-line block ×10, first 2 shown]
	v_ashrrev_i32_e32 v12, s33, v11
	v_bfe_u32 v13, v12, 2, 2
	v_and_b32_e32 v12, 3, v12
	v_lshlrev_b32_e32 v14, 1, v12
	v_lshlrev_b32_e32 v12, 3, v13
	v_or3_b32 v101, v58, v12, v14
	ds_read_u16 v12, v101
	buffer_store_dword v13, off, s[80:83], 0 offset:88 ; 4-byte Folded Spill
	buffer_store_dword v14, off, s[80:83], 0 offset:92 ; 4-byte Folded Spill
	s_waitcnt lgkmcnt(0)
	v_add_u16_e32 v12, 1, v12
	ds_write_b16 v101, v12
	v_ashrrev_i32_e32 v12, s33, v4
	v_bfe_u32 v13, v12, 2, 2
	v_and_b32_e32 v12, 3, v12
	v_lshlrev_b32_e32 v14, 1, v12
	v_lshlrev_b32_e32 v12, 3, v13
	v_or3_b32 v98, v58, v12, v14
	ds_read_u16 v12, v98
	buffer_store_dword v13, off, s[80:83], 0 offset:80 ; 4-byte Folded Spill
	buffer_store_dword v14, off, s[80:83], 0 offset:84 ; 4-byte Folded Spill
	s_waitcnt lgkmcnt(0)
	v_add_u16_e32 v12, 1, v12
	ds_write_b16 v98, v12
	;; [unrolled: 12-line block ×8, first 2 shown]
	v_ashrrev_i32_e32 v12, s33, v3
	v_bfe_u32 v13, v12, 2, 2
	v_and_b32_e32 v12, 3, v12
	v_lshlrev_b32_e32 v14, 1, v12
	v_lshlrev_b32_e32 v12, 3, v13
	buffer_store_dword v13, off, s[80:83], 0 offset:24 ; 4-byte Folded Spill
	buffer_store_dword v14, off, s[80:83], 0 offset:28 ; 4-byte Folded Spill
	v_or3_b32 v78, v58, v12, v14
	ds_read_u16 v12, v78
	ds_read_b128 v[44:47], v57
	ds_read_b128 v[40:43], v57 offset:16
	ds_read_b128 v[36:39], v57 offset:32
	ds_read_b128 v[32:35], v57 offset:48
	s_waitcnt lgkmcnt(4)
	v_add_u16_e32 v12, 1, v12
	ds_write_b16 v78, v12
	ds_read_b128 v[20:23], v57 offset:64
	ds_read_b128 v[12:15], v57 offset:80
	s_waitcnt lgkmcnt(0)
	s_barrier
	ds_read_b64 v[48:49], v58
	s_waitcnt lgkmcnt(0)
	ds_write_b64 v59, v[48:49]
	s_waitcnt lgkmcnt(0)
	s_barrier
	s_and_saveexec_b64 s[68:69], s[48:49]
	s_cbranch_execz .LBB1_191
; %bb.190:                              ;   in Loop: Header=BB1_53 Depth=1
	ds_read_b128 v[124:127], v75
	s_waitcnt lgkmcnt(0)
	v_add_co_u32_e64 v48, s[62:63], v126, v124
	v_addc_co_u32_e64 v49, s[62:63], v127, v125, s[62:63]
	ds_write_b64 v75, v[48:49] offset:8
.LBB1_191:                              ;   in Loop: Header=BB1_53 Depth=1
	s_or_b64 exec, exec, s[68:69]
	s_waitcnt lgkmcnt(0)
	s_barrier
	s_and_saveexec_b64 s[68:69], s[50:51]
	s_cbranch_execz .LBB1_193
; %bb.192:                              ;   in Loop: Header=BB1_53 Depth=1
	ds_read_b64 v[48:49], v61 offset:28696
	ds_read_b64 v[50:51], v60 offset:28696
	s_waitcnt lgkmcnt(0)
	v_add_co_u32_e64 v48, s[62:63], v50, v48
	v_addc_co_u32_e64 v49, s[62:63], v51, v49, s[62:63]
	ds_write_b64 v60, v[48:49] offset:28696
.LBB1_193:                              ;   in Loop: Header=BB1_53 Depth=1
	s_or_b64 exec, exec, s[68:69]
	s_waitcnt lgkmcnt(0)
	s_barrier
	s_and_saveexec_b64 s[68:69], s[52:53]
	s_cbranch_execz .LBB1_195
; %bb.194:                              ;   in Loop: Header=BB1_53 Depth=1
	ds_read_b64 v[48:49], v63 offset:28696
	ds_read_b64 v[50:51], v62 offset:28696
	s_waitcnt lgkmcnt(0)
	v_add_co_u32_e64 v48, s[62:63], v50, v48
	v_addc_co_u32_e64 v49, s[62:63], v51, v49, s[62:63]
	ds_write_b64 v62, v[48:49] offset:28696
.LBB1_195:                              ;   in Loop: Header=BB1_53 Depth=1
	;; [unrolled: 13-line block ×5, first 2 shown]
	s_or_b64 exec, exec, s[68:69]
	s_waitcnt lgkmcnt(0)
	s_barrier
	s_and_saveexec_b64 s[68:69], s[60:61]
	s_cbranch_execz .LBB1_203
; %bb.202:                              ;   in Loop: Header=BB1_53 Depth=1
	ds_read2st64_b64 v[124:127], v77 offset0:57 offset1:58
	s_waitcnt lgkmcnt(0)
	v_add_co_u32_e64 v48, s[62:63], v126, v124
	v_addc_co_u32_e64 v49, s[62:63], v127, v125, s[62:63]
	ds_write_b64 v54, v[48:49] offset:29720
.LBB1_203:                              ;   in Loop: Header=BB1_53 Depth=1
	s_or_b64 exec, exec, s[68:69]
	s_waitcnt lgkmcnt(0)
	s_barrier
	s_barrier
	s_and_saveexec_b64 s[68:69], s[60:61]
	s_cbranch_execz .LBB1_205
; %bb.204:                              ;   in Loop: Header=BB1_53 Depth=1
	ds_read_b64 v[48:49], v54 offset:29720
	v_mov_b32_e32 v55, v54
	s_waitcnt lgkmcnt(0)
	ds_write_b64 v54, v[48:49] offset:29728
	s_waitcnt lgkmcnt(0)
	ds_write_b64 v54, v[54:55] offset:29720
	s_waitcnt lgkmcnt(0)
	ds_read2st64_b64 v[124:127], v77 offset0:57 offset1:58
	s_waitcnt lgkmcnt(0)
	v_add_co_u32_e64 v48, s[62:63], v126, v124
	v_addc_co_u32_e64 v49, s[62:63], v127, v125, s[62:63]
	ds_write2st64_b64 v77, v[126:127], v[48:49] offset0:57 offset1:58
.LBB1_205:                              ;   in Loop: Header=BB1_53 Depth=1
	s_or_b64 exec, exec, s[68:69]
	s_waitcnt lgkmcnt(0)
	s_barrier
	s_and_saveexec_b64 s[68:69], s[58:59]
	s_cbranch_execz .LBB1_207
; %bb.206:                              ;   in Loop: Header=BB1_53 Depth=1
	ds_read_b64 v[48:49], v68 offset:28696
	ds_read_b64 v[50:51], v69 offset:28696
	s_waitcnt lgkmcnt(1)
	ds_write_b64 v69, v[48:49] offset:28696
	s_waitcnt lgkmcnt(1)
	v_add_co_u32_e64 v48, s[62:63], v48, v50
	v_addc_co_u32_e64 v49, s[62:63], v49, v51, s[62:63]
	ds_write_b64 v68, v[48:49] offset:28696
.LBB1_207:                              ;   in Loop: Header=BB1_53 Depth=1
	s_or_b64 exec, exec, s[68:69]
	s_waitcnt lgkmcnt(0)
	s_barrier
	s_and_saveexec_b64 s[68:69], s[56:57]
	s_cbranch_execz .LBB1_209
; %bb.208:                              ;   in Loop: Header=BB1_53 Depth=1
	ds_read_b64 v[48:49], v66 offset:28696
	ds_read_b64 v[50:51], v67 offset:28696
	s_waitcnt lgkmcnt(1)
	ds_write_b64 v67, v[48:49] offset:28696
	s_waitcnt lgkmcnt(1)
	v_add_co_u32_e64 v48, s[62:63], v48, v50
	v_addc_co_u32_e64 v49, s[62:63], v49, v51, s[62:63]
	ds_write_b64 v66, v[48:49] offset:28696
.LBB1_209:                              ;   in Loop: Header=BB1_53 Depth=1
	;; [unrolled: 15-line block ×5, first 2 shown]
	s_or_b64 exec, exec, s[68:69]
	s_waitcnt lgkmcnt(0)
	s_barrier
	s_and_saveexec_b64 s[68:69], s[48:49]
	s_cbranch_execz .LBB1_217
; %bb.216:                              ;   in Loop: Header=BB1_53 Depth=1
	ds_read_b128 v[124:127], v75
	s_waitcnt lgkmcnt(0)
	v_add_co_u32_e64 v50, s[62:63], v126, v124
	v_addc_co_u32_e64 v51, s[62:63], v127, v125, s[62:63]
	v_mov_b32_e32 v48, v126
	v_mov_b32_e32 v49, v127
	ds_write_b128 v75, v[48:51]
.LBB1_217:                              ;   in Loop: Header=BB1_53 Depth=1
	s_or_b64 exec, exec, s[68:69]
	s_waitcnt lgkmcnt(0)
	s_barrier
	s_barrier
	ds_read_b64 v[48:49], v54 offset:29728
	s_waitcnt lgkmcnt(0)
	s_barrier
	ds_read_b64 v[50:51], v59
	s_waitcnt lgkmcnt(0)
	ds_write_b64 v58, v[50:51]
	s_and_saveexec_b64 s[62:63], s[60:61]
	s_cbranch_execz .LBB1_219
; %bb.218:                              ;   in Loop: Header=BB1_53 Depth=1
	ds_write_b64 v54, v[48:49] offset:28672
.LBB1_219:                              ;   in Loop: Header=BB1_53 Depth=1
	s_or_b64 exec, exec, s[62:63]
	ds_read_b64 v[48:49], v58 offset:8
	s_waitcnt lgkmcnt(0)
	ds_write_b64 v59, v[48:49]
	s_waitcnt lgkmcnt(0)
	s_barrier
	s_and_saveexec_b64 s[68:69], s[48:49]
	s_cbranch_execz .LBB1_221
; %bb.220:                              ;   in Loop: Header=BB1_53 Depth=1
	ds_read_b128 v[48:51], v75
	s_waitcnt lgkmcnt(0)
	v_add_co_u32_e64 v48, s[62:63], v50, v48
	v_addc_co_u32_e64 v49, s[62:63], v51, v49, s[62:63]
	ds_write_b64 v75, v[48:49] offset:8
.LBB1_221:                              ;   in Loop: Header=BB1_53 Depth=1
	s_or_b64 exec, exec, s[68:69]
	s_waitcnt lgkmcnt(0)
	s_barrier
	s_and_saveexec_b64 s[68:69], s[50:51]
	s_cbranch_execz .LBB1_223
; %bb.222:                              ;   in Loop: Header=BB1_53 Depth=1
	ds_read_b64 v[48:49], v61 offset:28696
	ds_read_b64 v[50:51], v60 offset:28696
	s_waitcnt lgkmcnt(0)
	v_add_co_u32_e64 v48, s[62:63], v50, v48
	v_addc_co_u32_e64 v49, s[62:63], v51, v49, s[62:63]
	ds_write_b64 v60, v[48:49] offset:28696
.LBB1_223:                              ;   in Loop: Header=BB1_53 Depth=1
	s_or_b64 exec, exec, s[68:69]
	s_waitcnt lgkmcnt(0)
	s_barrier
	s_and_saveexec_b64 s[68:69], s[52:53]
	s_cbranch_execz .LBB1_225
; %bb.224:                              ;   in Loop: Header=BB1_53 Depth=1
	ds_read_b64 v[48:49], v63 offset:28696
	ds_read_b64 v[50:51], v62 offset:28696
	s_waitcnt lgkmcnt(0)
	v_add_co_u32_e64 v48, s[62:63], v50, v48
	v_addc_co_u32_e64 v49, s[62:63], v51, v49, s[62:63]
	ds_write_b64 v62, v[48:49] offset:28696
.LBB1_225:                              ;   in Loop: Header=BB1_53 Depth=1
	;; [unrolled: 13-line block ×5, first 2 shown]
	s_or_b64 exec, exec, s[68:69]
	s_waitcnt lgkmcnt(0)
	s_barrier
	s_and_saveexec_b64 s[68:69], s[60:61]
	s_cbranch_execz .LBB1_233
; %bb.232:                              ;   in Loop: Header=BB1_53 Depth=1
	ds_read2st64_b64 v[48:51], v77 offset0:57 offset1:58
	s_waitcnt lgkmcnt(0)
	v_add_co_u32_e64 v48, s[62:63], v50, v48
	v_addc_co_u32_e64 v49, s[62:63], v51, v49, s[62:63]
	ds_write_b64 v54, v[48:49] offset:29720
.LBB1_233:                              ;   in Loop: Header=BB1_53 Depth=1
	s_or_b64 exec, exec, s[68:69]
	s_waitcnt lgkmcnt(0)
	s_barrier
	s_barrier
	s_and_saveexec_b64 s[68:69], s[60:61]
	s_cbranch_execz .LBB1_235
; %bb.234:                              ;   in Loop: Header=BB1_53 Depth=1
	ds_read_b64 v[48:49], v54 offset:29720
	v_mov_b32_e32 v55, v54
	s_waitcnt lgkmcnt(0)
	ds_write_b64 v54, v[48:49] offset:29728
	s_waitcnt lgkmcnt(0)
	ds_write_b64 v54, v[54:55] offset:29720
	s_waitcnt lgkmcnt(0)
	ds_read2st64_b64 v[48:51], v77 offset0:57 offset1:58
	s_waitcnt lgkmcnt(0)
	v_add_co_u32_e64 v48, s[62:63], v50, v48
	v_addc_co_u32_e64 v49, s[62:63], v51, v49, s[62:63]
	ds_write2st64_b64 v77, v[50:51], v[48:49] offset0:57 offset1:58
.LBB1_235:                              ;   in Loop: Header=BB1_53 Depth=1
	s_or_b64 exec, exec, s[68:69]
	s_waitcnt lgkmcnt(0)
	s_barrier
	s_and_saveexec_b64 s[68:69], s[58:59]
	s_cbranch_execz .LBB1_237
; %bb.236:                              ;   in Loop: Header=BB1_53 Depth=1
	ds_read_b64 v[48:49], v68 offset:28696
	ds_read_b64 v[50:51], v69 offset:28696
	s_waitcnt lgkmcnt(1)
	ds_write_b64 v69, v[48:49] offset:28696
	s_waitcnt lgkmcnt(1)
	v_add_co_u32_e64 v48, s[62:63], v48, v50
	v_addc_co_u32_e64 v49, s[62:63], v49, v51, s[62:63]
	ds_write_b64 v68, v[48:49] offset:28696
.LBB1_237:                              ;   in Loop: Header=BB1_53 Depth=1
	s_or_b64 exec, exec, s[68:69]
	s_waitcnt lgkmcnt(0)
	s_barrier
	s_and_saveexec_b64 s[68:69], s[56:57]
	s_cbranch_execz .LBB1_239
; %bb.238:                              ;   in Loop: Header=BB1_53 Depth=1
	ds_read_b64 v[48:49], v66 offset:28696
	ds_read_b64 v[50:51], v67 offset:28696
	s_waitcnt lgkmcnt(1)
	ds_write_b64 v67, v[48:49] offset:28696
	s_waitcnt lgkmcnt(1)
	v_add_co_u32_e64 v48, s[62:63], v48, v50
	v_addc_co_u32_e64 v49, s[62:63], v49, v51, s[62:63]
	ds_write_b64 v66, v[48:49] offset:28696
.LBB1_239:                              ;   in Loop: Header=BB1_53 Depth=1
	;; [unrolled: 15-line block ×5, first 2 shown]
	s_or_b64 exec, exec, s[68:69]
	s_waitcnt lgkmcnt(0)
	s_barrier
	s_and_saveexec_b64 s[68:69], s[48:49]
	s_cbranch_execz .LBB1_247
; %bb.246:                              ;   in Loop: Header=BB1_53 Depth=1
	ds_read_b128 v[48:51], v75
	s_waitcnt lgkmcnt(0)
	v_add_co_u32_e64 v126, s[62:63], v50, v48
	v_addc_co_u32_e64 v127, s[62:63], v51, v49, s[62:63]
	v_mov_b32_e32 v124, v50
	v_mov_b32_e32 v125, v51
	ds_write_b128 v75, v[124:127]
.LBB1_247:                              ;   in Loop: Header=BB1_53 Depth=1
	s_or_b64 exec, exec, s[68:69]
	s_waitcnt lgkmcnt(0)
	s_barrier
	s_barrier
	ds_read_b64 v[48:49], v54 offset:29728
	s_waitcnt lgkmcnt(0)
	s_barrier
	ds_read_b64 v[50:51], v59
	s_waitcnt lgkmcnt(0)
	ds_write_b64 v58, v[50:51] offset:8
	s_and_saveexec_b64 s[62:63], s[60:61]
	s_cbranch_execz .LBB1_249
; %bb.248:                              ;   in Loop: Header=BB1_53 Depth=1
	ds_write_b64 v54, v[48:49] offset:28680
.LBB1_249:                              ;   in Loop: Header=BB1_53 Depth=1
	s_or_b64 exec, exec, s[62:63]
	ds_read_b64 v[48:49], v58 offset:16
	s_waitcnt lgkmcnt(0)
	ds_write_b64 v59, v[48:49]
	s_waitcnt lgkmcnt(0)
	s_barrier
	s_and_saveexec_b64 s[68:69], s[48:49]
	s_cbranch_execz .LBB1_251
; %bb.250:                              ;   in Loop: Header=BB1_53 Depth=1
	ds_read_b128 v[48:51], v75
	s_waitcnt lgkmcnt(0)
	v_add_co_u32_e64 v48, s[62:63], v50, v48
	v_addc_co_u32_e64 v49, s[62:63], v51, v49, s[62:63]
	ds_write_b64 v75, v[48:49] offset:8
.LBB1_251:                              ;   in Loop: Header=BB1_53 Depth=1
	s_or_b64 exec, exec, s[68:69]
	s_waitcnt lgkmcnt(0)
	s_barrier
	s_and_saveexec_b64 s[68:69], s[50:51]
	s_cbranch_execz .LBB1_253
; %bb.252:                              ;   in Loop: Header=BB1_53 Depth=1
	ds_read_b64 v[48:49], v61 offset:28696
	ds_read_b64 v[50:51], v60 offset:28696
	s_waitcnt lgkmcnt(0)
	v_add_co_u32_e64 v48, s[62:63], v50, v48
	v_addc_co_u32_e64 v49, s[62:63], v51, v49, s[62:63]
	ds_write_b64 v60, v[48:49] offset:28696
.LBB1_253:                              ;   in Loop: Header=BB1_53 Depth=1
	s_or_b64 exec, exec, s[68:69]
	s_waitcnt lgkmcnt(0)
	s_barrier
	s_and_saveexec_b64 s[68:69], s[52:53]
	s_cbranch_execz .LBB1_255
; %bb.254:                              ;   in Loop: Header=BB1_53 Depth=1
	ds_read_b64 v[48:49], v63 offset:28696
	ds_read_b64 v[50:51], v62 offset:28696
	s_waitcnt lgkmcnt(0)
	v_add_co_u32_e64 v48, s[62:63], v50, v48
	v_addc_co_u32_e64 v49, s[62:63], v51, v49, s[62:63]
	ds_write_b64 v62, v[48:49] offset:28696
.LBB1_255:                              ;   in Loop: Header=BB1_53 Depth=1
	;; [unrolled: 13-line block ×5, first 2 shown]
	s_or_b64 exec, exec, s[68:69]
	s_waitcnt lgkmcnt(0)
	s_barrier
	s_and_saveexec_b64 s[68:69], s[60:61]
	s_cbranch_execz .LBB1_263
; %bb.262:                              ;   in Loop: Header=BB1_53 Depth=1
	ds_read2st64_b64 v[48:51], v77 offset0:57 offset1:58
	s_waitcnt lgkmcnt(0)
	v_add_co_u32_e64 v48, s[62:63], v50, v48
	v_addc_co_u32_e64 v49, s[62:63], v51, v49, s[62:63]
	ds_write_b64 v54, v[48:49] offset:29720
.LBB1_263:                              ;   in Loop: Header=BB1_53 Depth=1
	s_or_b64 exec, exec, s[68:69]
	s_waitcnt lgkmcnt(0)
	s_barrier
	s_barrier
	s_and_saveexec_b64 s[68:69], s[60:61]
	s_cbranch_execz .LBB1_265
; %bb.264:                              ;   in Loop: Header=BB1_53 Depth=1
	ds_read_b64 v[48:49], v54 offset:29720
	v_mov_b32_e32 v55, v54
	s_waitcnt lgkmcnt(0)
	ds_write_b64 v54, v[48:49] offset:29728
	s_waitcnt lgkmcnt(0)
	ds_write_b64 v54, v[54:55] offset:29720
	s_waitcnt lgkmcnt(0)
	ds_read2st64_b64 v[48:51], v77 offset0:57 offset1:58
	s_waitcnt lgkmcnt(0)
	v_add_co_u32_e64 v48, s[62:63], v50, v48
	v_addc_co_u32_e64 v49, s[62:63], v51, v49, s[62:63]
	ds_write2st64_b64 v77, v[50:51], v[48:49] offset0:57 offset1:58
.LBB1_265:                              ;   in Loop: Header=BB1_53 Depth=1
	s_or_b64 exec, exec, s[68:69]
	s_waitcnt lgkmcnt(0)
	s_barrier
	s_and_saveexec_b64 s[68:69], s[58:59]
	s_cbranch_execz .LBB1_267
; %bb.266:                              ;   in Loop: Header=BB1_53 Depth=1
	ds_read_b64 v[48:49], v68 offset:28696
	ds_read_b64 v[50:51], v69 offset:28696
	s_waitcnt lgkmcnt(1)
	ds_write_b64 v69, v[48:49] offset:28696
	s_waitcnt lgkmcnt(1)
	v_add_co_u32_e64 v48, s[62:63], v48, v50
	v_addc_co_u32_e64 v49, s[62:63], v49, v51, s[62:63]
	ds_write_b64 v68, v[48:49] offset:28696
.LBB1_267:                              ;   in Loop: Header=BB1_53 Depth=1
	s_or_b64 exec, exec, s[68:69]
	s_waitcnt lgkmcnt(0)
	s_barrier
	s_and_saveexec_b64 s[68:69], s[56:57]
	s_cbranch_execz .LBB1_269
; %bb.268:                              ;   in Loop: Header=BB1_53 Depth=1
	ds_read_b64 v[48:49], v66 offset:28696
	ds_read_b64 v[50:51], v67 offset:28696
	s_waitcnt lgkmcnt(1)
	ds_write_b64 v67, v[48:49] offset:28696
	s_waitcnt lgkmcnt(1)
	v_add_co_u32_e64 v48, s[62:63], v48, v50
	v_addc_co_u32_e64 v49, s[62:63], v49, v51, s[62:63]
	ds_write_b64 v66, v[48:49] offset:28696
.LBB1_269:                              ;   in Loop: Header=BB1_53 Depth=1
	;; [unrolled: 15-line block ×5, first 2 shown]
	s_or_b64 exec, exec, s[68:69]
	s_waitcnt lgkmcnt(0)
	s_barrier
	s_and_saveexec_b64 s[68:69], s[48:49]
	s_cbranch_execz .LBB1_277
; %bb.276:                              ;   in Loop: Header=BB1_53 Depth=1
	ds_read_b128 v[48:51], v75
	s_waitcnt lgkmcnt(0)
	v_add_co_u32_e64 v126, s[62:63], v50, v48
	v_addc_co_u32_e64 v127, s[62:63], v51, v49, s[62:63]
	v_mov_b32_e32 v124, v50
	v_mov_b32_e32 v125, v51
	ds_write_b128 v75, v[124:127]
.LBB1_277:                              ;   in Loop: Header=BB1_53 Depth=1
	s_or_b64 exec, exec, s[68:69]
	s_waitcnt lgkmcnt(0)
	s_barrier
	s_barrier
	ds_read_b64 v[48:49], v54 offset:29728
	s_waitcnt lgkmcnt(0)
	s_barrier
	ds_read_b64 v[50:51], v59
	s_waitcnt lgkmcnt(0)
	ds_write_b64 v58, v[50:51] offset:16
	s_and_saveexec_b64 s[62:63], s[60:61]
	s_cbranch_execz .LBB1_279
; %bb.278:                              ;   in Loop: Header=BB1_53 Depth=1
	ds_write_b64 v54, v[48:49] offset:28688
.LBB1_279:                              ;   in Loop: Header=BB1_53 Depth=1
	s_or_b64 exec, exec, s[62:63]
	ds_read_b64 v[48:49], v58 offset:24
	s_waitcnt lgkmcnt(0)
	ds_write_b64 v59, v[48:49]
	s_waitcnt lgkmcnt(0)
	s_barrier
	s_and_saveexec_b64 s[68:69], s[48:49]
	s_cbranch_execz .LBB1_281
; %bb.280:                              ;   in Loop: Header=BB1_53 Depth=1
	ds_read_b128 v[48:51], v75
	s_waitcnt lgkmcnt(0)
	v_add_co_u32_e64 v48, s[62:63], v50, v48
	v_addc_co_u32_e64 v49, s[62:63], v51, v49, s[62:63]
	ds_write_b64 v75, v[48:49] offset:8
.LBB1_281:                              ;   in Loop: Header=BB1_53 Depth=1
	s_or_b64 exec, exec, s[68:69]
	s_waitcnt lgkmcnt(0)
	s_barrier
	s_and_saveexec_b64 s[68:69], s[50:51]
	s_cbranch_execz .LBB1_283
; %bb.282:                              ;   in Loop: Header=BB1_53 Depth=1
	ds_read_b64 v[48:49], v61 offset:28696
	ds_read_b64 v[50:51], v60 offset:28696
	s_waitcnt lgkmcnt(0)
	v_add_co_u32_e64 v48, s[62:63], v50, v48
	v_addc_co_u32_e64 v49, s[62:63], v51, v49, s[62:63]
	ds_write_b64 v60, v[48:49] offset:28696
.LBB1_283:                              ;   in Loop: Header=BB1_53 Depth=1
	s_or_b64 exec, exec, s[68:69]
	s_waitcnt lgkmcnt(0)
	s_barrier
	s_and_saveexec_b64 s[68:69], s[52:53]
	s_cbranch_execz .LBB1_285
; %bb.284:                              ;   in Loop: Header=BB1_53 Depth=1
	ds_read_b64 v[48:49], v63 offset:28696
	ds_read_b64 v[50:51], v62 offset:28696
	s_waitcnt lgkmcnt(0)
	v_add_co_u32_e64 v48, s[62:63], v50, v48
	v_addc_co_u32_e64 v49, s[62:63], v51, v49, s[62:63]
	ds_write_b64 v62, v[48:49] offset:28696
.LBB1_285:                              ;   in Loop: Header=BB1_53 Depth=1
	;; [unrolled: 13-line block ×5, first 2 shown]
	s_or_b64 exec, exec, s[68:69]
	s_waitcnt lgkmcnt(0)
	s_barrier
	s_and_saveexec_b64 s[68:69], s[60:61]
	s_cbranch_execz .LBB1_293
; %bb.292:                              ;   in Loop: Header=BB1_53 Depth=1
	ds_read2st64_b64 v[48:51], v77 offset0:57 offset1:58
	s_waitcnt lgkmcnt(0)
	v_add_co_u32_e64 v48, s[62:63], v50, v48
	v_addc_co_u32_e64 v49, s[62:63], v51, v49, s[62:63]
	ds_write_b64 v54, v[48:49] offset:29720
.LBB1_293:                              ;   in Loop: Header=BB1_53 Depth=1
	s_or_b64 exec, exec, s[68:69]
	s_waitcnt lgkmcnt(0)
	s_barrier
	s_barrier
	s_and_saveexec_b64 s[68:69], s[60:61]
	s_cbranch_execz .LBB1_295
; %bb.294:                              ;   in Loop: Header=BB1_53 Depth=1
	ds_read_b64 v[48:49], v54 offset:29720
	v_mov_b32_e32 v55, v54
	s_waitcnt lgkmcnt(0)
	ds_write_b64 v54, v[48:49] offset:29728
	s_waitcnt lgkmcnt(0)
	ds_write_b64 v54, v[54:55] offset:29720
	s_waitcnt lgkmcnt(0)
	ds_read2st64_b64 v[48:51], v77 offset0:57 offset1:58
	s_waitcnt lgkmcnt(0)
	v_add_co_u32_e64 v48, s[62:63], v50, v48
	v_addc_co_u32_e64 v49, s[62:63], v51, v49, s[62:63]
	ds_write2st64_b64 v77, v[50:51], v[48:49] offset0:57 offset1:58
.LBB1_295:                              ;   in Loop: Header=BB1_53 Depth=1
	s_or_b64 exec, exec, s[68:69]
	s_waitcnt lgkmcnt(0)
	s_barrier
	s_and_saveexec_b64 s[68:69], s[58:59]
	s_cbranch_execz .LBB1_297
; %bb.296:                              ;   in Loop: Header=BB1_53 Depth=1
	ds_read_b64 v[48:49], v68 offset:28696
	ds_read_b64 v[50:51], v69 offset:28696
	s_waitcnt lgkmcnt(1)
	ds_write_b64 v69, v[48:49] offset:28696
	s_waitcnt lgkmcnt(1)
	v_add_co_u32_e64 v48, s[62:63], v48, v50
	v_addc_co_u32_e64 v49, s[62:63], v49, v51, s[62:63]
	ds_write_b64 v68, v[48:49] offset:28696
.LBB1_297:                              ;   in Loop: Header=BB1_53 Depth=1
	s_or_b64 exec, exec, s[68:69]
	s_waitcnt lgkmcnt(0)
	s_barrier
	s_and_saveexec_b64 s[68:69], s[56:57]
	s_cbranch_execz .LBB1_299
; %bb.298:                              ;   in Loop: Header=BB1_53 Depth=1
	ds_read_b64 v[48:49], v66 offset:28696
	ds_read_b64 v[50:51], v67 offset:28696
	s_waitcnt lgkmcnt(1)
	ds_write_b64 v67, v[48:49] offset:28696
	s_waitcnt lgkmcnt(1)
	v_add_co_u32_e64 v48, s[62:63], v48, v50
	v_addc_co_u32_e64 v49, s[62:63], v49, v51, s[62:63]
	ds_write_b64 v66, v[48:49] offset:28696
.LBB1_299:                              ;   in Loop: Header=BB1_53 Depth=1
	;; [unrolled: 15-line block ×5, first 2 shown]
	s_or_b64 exec, exec, s[68:69]
	s_waitcnt lgkmcnt(0)
	s_barrier
	s_and_saveexec_b64 s[68:69], s[48:49]
	s_cbranch_execz .LBB1_307
; %bb.306:                              ;   in Loop: Header=BB1_53 Depth=1
	ds_read_b128 v[48:51], v75
	s_waitcnt lgkmcnt(0)
	v_add_co_u32_e64 v126, s[62:63], v50, v48
	v_addc_co_u32_e64 v127, s[62:63], v51, v49, s[62:63]
	v_mov_b32_e32 v124, v50
	v_mov_b32_e32 v125, v51
	ds_write_b128 v75, v[124:127]
.LBB1_307:                              ;   in Loop: Header=BB1_53 Depth=1
	s_or_b64 exec, exec, s[68:69]
	s_waitcnt lgkmcnt(0)
	s_barrier
	s_barrier
	ds_read_b64 v[48:49], v54 offset:29728
	s_waitcnt lgkmcnt(0)
	s_barrier
	ds_read_b64 v[50:51], v59
	s_waitcnt lgkmcnt(0)
	ds_write_b64 v58, v[50:51] offset:24
	s_and_saveexec_b64 s[62:63], s[60:61]
	s_cbranch_execz .LBB1_309
; %bb.308:                              ;   in Loop: Header=BB1_53 Depth=1
	ds_write_b64 v54, v[48:49] offset:28696
.LBB1_309:                              ;   in Loop: Header=BB1_53 Depth=1
	s_or_b64 exec, exec, s[62:63]
	s_waitcnt lgkmcnt(0)
	s_barrier
	s_and_saveexec_b64 s[62:63], s[54:55]
	s_xor_b64 s[62:63], exec, s[62:63]
	s_cbranch_execz .LBB1_311
; %bb.310:                              ;   in Loop: Header=BB1_53 Depth=1
	buffer_load_dword v48, off, s[80:83], 0 offset:20 ; 4-byte Folded Reload
	buffer_load_dword v50, off, s[80:83], 0 ; 4-byte Folded Reload
	s_waitcnt vmcnt(1)
	ds_read_u16 v48, v48 offset:4096
	s_waitcnt vmcnt(0)
	ds_read_u16 v49, v50 offset:2
	s_waitcnt lgkmcnt(0)
	v_add_u16_e32 v48, v49, v48
	ds_write_b16 v50, v48 offset:2
.LBB1_311:                              ;   in Loop: Header=BB1_53 Depth=1
	s_or_b64 exec, exec, s[62:63]
	s_waitcnt lgkmcnt(0)
	s_barrier
	s_and_saveexec_b64 s[62:63], s[56:57]
	s_cbranch_execz .LBB1_313
; %bb.312:                              ;   in Loop: Header=BB1_53 Depth=1
	buffer_load_dword v48, off, s[80:83], 0 offset:4 ; 4-byte Folded Reload
	buffer_load_dword v50, off, s[80:83], 0 offset:8 ; 4-byte Folded Reload
	s_waitcnt vmcnt(1)
	ds_read_u16 v48, v48 offset:28670
	s_waitcnt vmcnt(0)
	ds_read_u16 v49, v50 offset:28670
	s_waitcnt lgkmcnt(0)
	v_add_u16_e32 v48, v49, v48
	ds_write_b16 v50, v48 offset:28670
.LBB1_313:                              ;   in Loop: Header=BB1_53 Depth=1
	s_or_b64 exec, exec, s[62:63]
	s_waitcnt lgkmcnt(0)
	s_barrier
	s_and_saveexec_b64 s[62:63], s[58:59]
	s_cbranch_execz .LBB1_315
; %bb.314:                              ;   in Loop: Header=BB1_53 Depth=1
	buffer_load_dword v48, off, s[80:83], 0 offset:12 ; 4-byte Folded Reload
	buffer_load_dword v50, off, s[80:83], 0 offset:16 ; 4-byte Folded Reload
	s_waitcnt vmcnt(1)
	ds_read_u16 v48, v48 offset:28670
	s_waitcnt vmcnt(0)
	ds_read_u16 v49, v50 offset:28670
	s_waitcnt lgkmcnt(0)
	v_add_u16_e32 v48, v49, v48
	ds_write_b16 v50, v48 offset:28670
.LBB1_315:                              ;   in Loop: Header=BB1_53 Depth=1
	s_or_b64 exec, exec, s[62:63]
	s_waitcnt lgkmcnt(0)
	s_barrier
	s_and_saveexec_b64 s[62:63], s[60:61]
	s_cbranch_execz .LBB1_317
; %bb.316:                              ;   in Loop: Header=BB1_53 Depth=1
	ds_read_u16 v48, v54 offset:28686
	ds_read_u16 v49, v54 offset:28702
	s_waitcnt lgkmcnt(0)
	v_add_u32_e32 v48, v49, v48
	ds_write_b16 v54, v48 offset:28702
.LBB1_317:                              ;   in Loop: Header=BB1_53 Depth=1
	s_or_b64 exec, exec, s[62:63]
	s_waitcnt lgkmcnt(0)
	s_barrier
	s_barrier
	s_and_saveexec_b64 s[62:63], s[60:61]
	s_cbranch_execz .LBB1_319
; %bb.318:                              ;   in Loop: Header=BB1_53 Depth=1
	ds_read_u16 v48, v54 offset:28702
	s_waitcnt lgkmcnt(0)
	ds_write_b16 v54, v48 offset:29736
	s_waitcnt lgkmcnt(0)
	ds_write_b16 v54, v54 offset:28702
	s_waitcnt lgkmcnt(0)
	ds_read_u16 v48, v54 offset:28702
	ds_read_u16 v49, v54 offset:28686
	s_waitcnt lgkmcnt(1)
	ds_write_b16 v54, v48 offset:28686
	s_waitcnt lgkmcnt(1)
	v_add_u32_e32 v48, v48, v49
	ds_write_b16 v54, v48 offset:28702
.LBB1_319:                              ;   in Loop: Header=BB1_53 Depth=1
	s_or_b64 exec, exec, s[62:63]
	s_waitcnt lgkmcnt(0)
	s_barrier
	s_and_saveexec_b64 s[62:63], s[58:59]
	s_cbranch_execz .LBB1_321
; %bb.320:                              ;   in Loop: Header=BB1_53 Depth=1
	buffer_load_dword v51, off, s[80:83], 0 offset:16 ; 4-byte Folded Reload
	buffer_load_dword v50, off, s[80:83], 0 offset:12 ; 4-byte Folded Reload
	s_waitcnt vmcnt(1)
	ds_read_u16 v48, v51 offset:28670
	s_waitcnt vmcnt(0)
	ds_read_u16 v49, v50 offset:28670
	s_waitcnt lgkmcnt(1)
	ds_write_b16 v50, v48 offset:28670
	s_waitcnt lgkmcnt(1)
	v_add_u16_e32 v48, v48, v49
	ds_write_b16 v51, v48 offset:28670
.LBB1_321:                              ;   in Loop: Header=BB1_53 Depth=1
	s_or_b64 exec, exec, s[62:63]
	s_waitcnt lgkmcnt(0)
	s_barrier
	s_and_saveexec_b64 s[62:63], s[56:57]
	s_cbranch_execz .LBB1_323
; %bb.322:                              ;   in Loop: Header=BB1_53 Depth=1
	buffer_load_dword v51, off, s[80:83], 0 offset:8 ; 4-byte Folded Reload
	buffer_load_dword v50, off, s[80:83], 0 offset:4 ; 4-byte Folded Reload
	s_waitcnt vmcnt(1)
	ds_read_u16 v48, v51 offset:28670
	s_waitcnt vmcnt(0)
	ds_read_u16 v49, v50 offset:28670
	s_waitcnt lgkmcnt(1)
	ds_write_b16 v50, v48 offset:28670
	s_waitcnt lgkmcnt(1)
	v_add_u16_e32 v48, v48, v49
	ds_write_b16 v51, v48 offset:28670
.LBB1_323:                              ;   in Loop: Header=BB1_53 Depth=1
	s_or_b64 exec, exec, s[62:63]
	s_waitcnt lgkmcnt(0)
	s_barrier
	s_and_saveexec_b64 s[62:63], s[54:55]
	s_cbranch_execz .LBB1_52
; %bb.324:                              ;   in Loop: Header=BB1_53 Depth=1
	buffer_load_dword v50, off, s[80:83], 0 ; 4-byte Folded Reload
	buffer_load_dword v51, off, s[80:83], 0 offset:20 ; 4-byte Folded Reload
	s_waitcnt vmcnt(1)
	ds_read_u16 v48, v50 offset:2
	s_waitcnt vmcnt(0)
	ds_read_u16 v49, v51 offset:4096
	s_waitcnt lgkmcnt(1)
	ds_write_b16 v51, v48 offset:4096
	s_waitcnt lgkmcnt(1)
	v_add_u16_e32 v48, v48, v49
	ds_write_b16 v50, v48 offset:2
	s_branch .LBB1_52
.LBB1_325:
	s_and_saveexec_b64 s[48:49], vcc
	s_cbranch_execnz .LBB1_349
; %bb.326:
	s_or_b64 exec, exec, s[48:49]
	s_and_saveexec_b64 s[48:49], s[0:1]
	s_cbranch_execnz .LBB1_350
.LBB1_327:
	s_or_b64 exec, exec, s[48:49]
	s_and_saveexec_b64 s[0:1], s[2:3]
	s_cbranch_execnz .LBB1_351
.LBB1_328:
	s_or_b64 exec, exec, s[0:1]
	s_and_saveexec_b64 s[0:1], s[4:5]
	s_cbranch_execnz .LBB1_352
.LBB1_329:
	s_or_b64 exec, exec, s[0:1]
	s_and_saveexec_b64 s[0:1], s[6:7]
	s_cbranch_execnz .LBB1_353
.LBB1_330:
	s_or_b64 exec, exec, s[0:1]
	s_and_saveexec_b64 s[0:1], s[8:9]
	s_cbranch_execnz .LBB1_354
.LBB1_331:
	s_or_b64 exec, exec, s[0:1]
	s_and_saveexec_b64 s[0:1], s[10:11]
	s_cbranch_execnz .LBB1_355
.LBB1_332:
	s_or_b64 exec, exec, s[0:1]
	s_and_saveexec_b64 s[0:1], s[12:13]
	s_cbranch_execnz .LBB1_356
.LBB1_333:
	s_or_b64 exec, exec, s[0:1]
	s_and_saveexec_b64 s[0:1], s[14:15]
	s_cbranch_execnz .LBB1_357
.LBB1_334:
	s_or_b64 exec, exec, s[0:1]
	s_and_saveexec_b64 s[0:1], s[16:17]
	s_cbranch_execnz .LBB1_358
.LBB1_335:
	s_or_b64 exec, exec, s[0:1]
	s_and_saveexec_b64 s[0:1], s[18:19]
	s_cbranch_execnz .LBB1_359
.LBB1_336:
	s_or_b64 exec, exec, s[0:1]
	s_and_saveexec_b64 s[0:1], s[20:21]
	s_cbranch_execnz .LBB1_360
.LBB1_337:
	s_or_b64 exec, exec, s[0:1]
	s_and_saveexec_b64 s[0:1], s[22:23]
	s_cbranch_execnz .LBB1_361
.LBB1_338:
	s_or_b64 exec, exec, s[0:1]
	s_and_saveexec_b64 s[0:1], s[24:25]
	s_cbranch_execnz .LBB1_362
.LBB1_339:
	s_or_b64 exec, exec, s[0:1]
	s_and_saveexec_b64 s[0:1], s[26:27]
	s_cbranch_execnz .LBB1_363
.LBB1_340:
	s_or_b64 exec, exec, s[0:1]
	s_and_saveexec_b64 s[0:1], s[28:29]
	s_cbranch_execnz .LBB1_364
.LBB1_341:
	s_or_b64 exec, exec, s[0:1]
	s_and_saveexec_b64 s[0:1], s[30:31]
	s_cbranch_execnz .LBB1_365
.LBB1_342:
	s_or_b64 exec, exec, s[0:1]
	s_and_saveexec_b64 s[0:1], s[34:35]
	s_cbranch_execnz .LBB1_366
.LBB1_343:
	s_or_b64 exec, exec, s[0:1]
	s_and_saveexec_b64 s[0:1], s[36:37]
	s_cbranch_execnz .LBB1_367
.LBB1_344:
	s_or_b64 exec, exec, s[0:1]
	s_and_saveexec_b64 s[0:1], s[38:39]
	s_cbranch_execnz .LBB1_368
.LBB1_345:
	s_or_b64 exec, exec, s[0:1]
	s_and_saveexec_b64 s[0:1], s[40:41]
	s_cbranch_execnz .LBB1_369
.LBB1_346:
	s_or_b64 exec, exec, s[0:1]
	s_and_saveexec_b64 s[0:1], s[42:43]
	s_cbranch_execnz .LBB1_370
.LBB1_347:
	s_or_b64 exec, exec, s[0:1]
	s_and_saveexec_b64 s[0:1], s[44:45]
	s_cbranch_execnz .LBB1_371
.LBB1_348:
	s_or_b64 exec, exec, s[0:1]
	s_and_saveexec_b64 s[0:1], s[46:47]
	s_cbranch_execz .LBB1_1
	s_branch .LBB1_372
.LBB1_349:
	s_waitcnt lgkmcnt(11)
	global_store_dword v56, v2, s[64:65]
	s_waitcnt lgkmcnt(7)
	global_store_dword v56, v10, s[66:67]
	s_or_b64 exec, exec, s[48:49]
	s_and_saveexec_b64 s[48:49], s[0:1]
	s_cbranch_execz .LBB1_327
.LBB1_350:
	s_waitcnt lgkmcnt(11)
	global_store_dword v56, v3, s[64:65] offset:4
	s_waitcnt lgkmcnt(7)
	global_store_dword v56, v11, s[66:67] offset:4
	s_or_b64 exec, exec, s[48:49]
	s_and_saveexec_b64 s[0:1], s[2:3]
	s_cbranch_execz .LBB1_328
.LBB1_351:
	s_waitcnt lgkmcnt(11)
	global_store_dword v56, v4, s[64:65] offset:8
	s_waitcnt lgkmcnt(7)
	global_store_dword v56, v12, s[66:67] offset:8
	s_or_b64 exec, exec, s[0:1]
	s_and_saveexec_b64 s[0:1], s[4:5]
	s_cbranch_execz .LBB1_329
.LBB1_352:
	s_waitcnt lgkmcnt(11)
	global_store_dword v56, v5, s[64:65] offset:12
	s_waitcnt lgkmcnt(7)
	global_store_dword v56, v13, s[66:67] offset:12
	s_or_b64 exec, exec, s[0:1]
	s_and_saveexec_b64 s[0:1], s[6:7]
	s_cbranch_execz .LBB1_330
.LBB1_353:
	s_waitcnt lgkmcnt(10)
	global_store_dword v56, v6, s[64:65] offset:16
	s_waitcnt lgkmcnt(6)
	global_store_dword v56, v18, s[66:67] offset:16
	s_or_b64 exec, exec, s[0:1]
	s_and_saveexec_b64 s[0:1], s[8:9]
	s_cbranch_execz .LBB1_331
.LBB1_354:
	s_waitcnt lgkmcnt(10)
	global_store_dword v56, v7, s[64:65] offset:20
	s_waitcnt lgkmcnt(6)
	global_store_dword v56, v19, s[66:67] offset:20
	s_or_b64 exec, exec, s[0:1]
	s_and_saveexec_b64 s[0:1], s[10:11]
	s_cbranch_execz .LBB1_332
.LBB1_355:
	s_waitcnt lgkmcnt(10)
	global_store_dword v56, v8, s[64:65] offset:24
	s_waitcnt lgkmcnt(6)
	global_store_dword v56, v20, s[66:67] offset:24
	s_or_b64 exec, exec, s[0:1]
	s_and_saveexec_b64 s[0:1], s[12:13]
	s_cbranch_execz .LBB1_333
.LBB1_356:
	s_waitcnt lgkmcnt(10)
	global_store_dword v56, v9, s[64:65] offset:28
	s_waitcnt lgkmcnt(6)
	global_store_dword v56, v21, s[66:67] offset:28
	s_or_b64 exec, exec, s[0:1]
	s_and_saveexec_b64 s[0:1], s[14:15]
	s_cbranch_execz .LBB1_334
.LBB1_357:
	s_waitcnt lgkmcnt(9)
	global_store_dword v56, v14, s[64:65] offset:32
	s_waitcnt lgkmcnt(5)
	global_store_dword v56, v26, s[66:67] offset:32
	s_or_b64 exec, exec, s[0:1]
	s_and_saveexec_b64 s[0:1], s[16:17]
	s_cbranch_execz .LBB1_335
.LBB1_358:
	s_waitcnt lgkmcnt(9)
	global_store_dword v56, v15, s[64:65] offset:36
	s_waitcnt lgkmcnt(5)
	global_store_dword v56, v27, s[66:67] offset:36
	s_or_b64 exec, exec, s[0:1]
	s_and_saveexec_b64 s[0:1], s[18:19]
	s_cbranch_execz .LBB1_336
.LBB1_359:
	s_waitcnt lgkmcnt(9)
	global_store_dword v56, v16, s[64:65] offset:40
	s_waitcnt lgkmcnt(5)
	global_store_dword v56, v28, s[66:67] offset:40
	s_or_b64 exec, exec, s[0:1]
	s_and_saveexec_b64 s[0:1], s[20:21]
	s_cbranch_execz .LBB1_337
.LBB1_360:
	s_waitcnt lgkmcnt(9)
	global_store_dword v56, v17, s[64:65] offset:44
	s_waitcnt lgkmcnt(5)
	global_store_dword v56, v29, s[66:67] offset:44
	s_or_b64 exec, exec, s[0:1]
	s_and_saveexec_b64 s[0:1], s[22:23]
	s_cbranch_execz .LBB1_338
.LBB1_361:
	s_waitcnt lgkmcnt(8)
	global_store_dword v56, v22, s[64:65] offset:48
	s_waitcnt lgkmcnt(4)
	global_store_dword v56, v30, s[66:67] offset:48
	s_or_b64 exec, exec, s[0:1]
	s_and_saveexec_b64 s[0:1], s[24:25]
	s_cbranch_execz .LBB1_339
.LBB1_362:
	s_waitcnt lgkmcnt(8)
	global_store_dword v56, v23, s[64:65] offset:52
	s_waitcnt lgkmcnt(4)
	global_store_dword v56, v31, s[66:67] offset:52
	s_or_b64 exec, exec, s[0:1]
	s_and_saveexec_b64 s[0:1], s[26:27]
	s_cbranch_execz .LBB1_340
.LBB1_363:
	s_waitcnt lgkmcnt(8)
	global_store_dword v56, v24, s[64:65] offset:56
	s_waitcnt lgkmcnt(4)
	global_store_dword v56, v32, s[66:67] offset:56
	s_or_b64 exec, exec, s[0:1]
	s_and_saveexec_b64 s[0:1], s[28:29]
	s_cbranch_execz .LBB1_341
.LBB1_364:
	s_waitcnt lgkmcnt(8)
	global_store_dword v56, v25, s[64:65] offset:60
	s_waitcnt lgkmcnt(4)
	global_store_dword v56, v33, s[66:67] offset:60
	s_or_b64 exec, exec, s[0:1]
	s_and_saveexec_b64 s[0:1], s[30:31]
	s_cbranch_execz .LBB1_342
.LBB1_365:
	s_waitcnt lgkmcnt(3)
	global_store_dword v56, v34, s[64:65] offset:64
	s_waitcnt lgkmcnt(2)
	global_store_dword v56, v38, s[66:67] offset:64
	s_or_b64 exec, exec, s[0:1]
	s_and_saveexec_b64 s[0:1], s[34:35]
	s_cbranch_execz .LBB1_343
.LBB1_366:
	s_waitcnt lgkmcnt(3)
	global_store_dword v56, v35, s[64:65] offset:68
	s_waitcnt lgkmcnt(2)
	global_store_dword v56, v39, s[66:67] offset:68
	s_or_b64 exec, exec, s[0:1]
	s_and_saveexec_b64 s[0:1], s[36:37]
	s_cbranch_execz .LBB1_344
.LBB1_367:
	s_waitcnt lgkmcnt(3)
	global_store_dword v56, v36, s[64:65] offset:72
	s_waitcnt lgkmcnt(2)
	global_store_dword v56, v40, s[66:67] offset:72
	s_or_b64 exec, exec, s[0:1]
	s_and_saveexec_b64 s[0:1], s[38:39]
	s_cbranch_execz .LBB1_345
.LBB1_368:
	s_waitcnt lgkmcnt(3)
	global_store_dword v56, v37, s[64:65] offset:76
	s_waitcnt lgkmcnt(2)
	global_store_dword v56, v41, s[66:67] offset:76
	s_or_b64 exec, exec, s[0:1]
	s_and_saveexec_b64 s[0:1], s[40:41]
	s_cbranch_execz .LBB1_346
.LBB1_369:
	s_waitcnt lgkmcnt(1)
	global_store_dword v56, v42, s[64:65] offset:80
	s_waitcnt lgkmcnt(0)
	global_store_dword v56, v46, s[66:67] offset:80
	s_or_b64 exec, exec, s[0:1]
	s_and_saveexec_b64 s[0:1], s[42:43]
	s_cbranch_execz .LBB1_347
.LBB1_370:
	s_waitcnt lgkmcnt(1)
	global_store_dword v56, v43, s[64:65] offset:84
	s_waitcnt lgkmcnt(0)
	global_store_dword v56, v47, s[66:67] offset:84
	s_or_b64 exec, exec, s[0:1]
	s_and_saveexec_b64 s[0:1], s[44:45]
	s_cbranch_execz .LBB1_348
.LBB1_371:
	s_waitcnt lgkmcnt(1)
	global_store_dword v56, v44, s[64:65] offset:88
	s_waitcnt lgkmcnt(0)
	global_store_dword v56, v48, s[66:67] offset:88
	s_or_b64 exec, exec, s[0:1]
	s_and_saveexec_b64 s[0:1], s[46:47]
	s_cbranch_execz .LBB1_1
.LBB1_372:
	s_waitcnt lgkmcnt(1)
	global_store_dword v56, v45, s[64:65] offset:92
	s_waitcnt lgkmcnt(0)
	global_store_dword v56, v49, s[66:67] offset:92
	s_endpgm
	.section	.rodata,"a",@progbits
	.p2align	6, 0x0
	.amdhsa_kernel SortSinglePassKVKernel
		.amdhsa_group_segment_fixed_size 29744
		.amdhsa_private_segment_fixed_size 116
		.amdhsa_kernarg_size 44
		.amdhsa_user_sgpr_count 6
		.amdhsa_user_sgpr_private_segment_buffer 1
		.amdhsa_user_sgpr_dispatch_ptr 0
		.amdhsa_user_sgpr_queue_ptr 0
		.amdhsa_user_sgpr_kernarg_segment_ptr 1
		.amdhsa_user_sgpr_dispatch_id 0
		.amdhsa_user_sgpr_flat_scratch_init 0
		.amdhsa_user_sgpr_kernarg_preload_length 0
		.amdhsa_user_sgpr_kernarg_preload_offset 0
		.amdhsa_user_sgpr_private_segment_size 0
		.amdhsa_uses_dynamic_stack 0
		.amdhsa_system_sgpr_private_segment_wavefront_offset 1
		.amdhsa_system_sgpr_workgroup_id_x 1
		.amdhsa_system_sgpr_workgroup_id_y 0
		.amdhsa_system_sgpr_workgroup_id_z 0
		.amdhsa_system_sgpr_workgroup_info 0
		.amdhsa_system_vgpr_workitem_id 0
		.amdhsa_next_free_vgpr 128
		.amdhsa_next_free_sgpr 84
		.amdhsa_accum_offset 128
		.amdhsa_reserve_vcc 1
		.amdhsa_reserve_flat_scratch 0
		.amdhsa_float_round_mode_32 0
		.amdhsa_float_round_mode_16_64 0
		.amdhsa_float_denorm_mode_32 3
		.amdhsa_float_denorm_mode_16_64 3
		.amdhsa_dx10_clamp 1
		.amdhsa_ieee_mode 1
		.amdhsa_fp16_overflow 0
		.amdhsa_tg_split 0
		.amdhsa_exception_fp_ieee_invalid_op 0
		.amdhsa_exception_fp_denorm_src 0
		.amdhsa_exception_fp_ieee_div_zero 0
		.amdhsa_exception_fp_ieee_overflow 0
		.amdhsa_exception_fp_ieee_underflow 0
		.amdhsa_exception_fp_ieee_inexact 0
		.amdhsa_exception_int_div_zero 0
	.end_amdhsa_kernel
	.text
.Lfunc_end1:
	.size	SortSinglePassKVKernel, .Lfunc_end1-SortSinglePassKVKernel
                                        ; -- End function
	.section	.AMDGPU.csdata,"",@progbits
; Kernel info:
; codeLenInByte = 19836
; NumSgprs: 88
; NumVgprs: 128
; NumAgprs: 0
; TotalNumVgprs: 128
; ScratchSize: 116
; MemoryBound: 0
; FloatMode: 240
; IeeeMode: 1
; LDSByteSize: 29744 bytes/workgroup (compile time only)
; SGPRBlocks: 10
; VGPRBlocks: 15
; NumSGPRsForWavesPerEU: 88
; NumVGPRsForWavesPerEU: 128
; AccumOffset: 128
; Occupancy: 4
; WaveLimiterHint : 0
; COMPUTE_PGM_RSRC2:SCRATCH_EN: 1
; COMPUTE_PGM_RSRC2:USER_SGPR: 6
; COMPUTE_PGM_RSRC2:TRAP_HANDLER: 0
; COMPUTE_PGM_RSRC2:TGID_X_EN: 1
; COMPUTE_PGM_RSRC2:TGID_Y_EN: 0
; COMPUTE_PGM_RSRC2:TGID_Z_EN: 0
; COMPUTE_PGM_RSRC2:TIDIG_COMP_CNT: 0
; COMPUTE_PGM_RSRC3_GFX90A:ACCUM_OFFSET: 31
; COMPUTE_PGM_RSRC3_GFX90A:TG_SPLIT: 0
	.text
	.protected	GHistogram              ; -- Begin function GHistogram
	.globl	GHistogram
	.p2align	8
	.type	GHistogram,@function
GHistogram:                             ; @GHistogram
; %bb.0:
	s_movk_i32 s0, 0x100
	v_cmp_gt_u32_e64 s[0:1], s0, v0
	v_lshlrev_b32_e32 v1, 2, v0
	s_and_saveexec_b64 s[2:3], s[0:1]
	s_cbranch_execz .LBB2_2
; %bb.1:
	v_mov_b32_e32 v2, 0
	ds_write2st64_b32 v1, v2, v2 offset1:4
	ds_write2st64_b32 v1, v2, v2 offset0:8 offset1:12
.LBB2_2:
	s_or_b64 exec, exec, s[2:3]
	s_load_dword s12, s[4:5], 0x8
	s_load_dwordx2 s[6:7], s[4:5], 0x0
	s_load_dword s13, s[4:5], 0x18
	s_load_dwordx2 s[8:9], s[4:5], 0x20
	v_cmp_eq_u32_e64 s[2:3], 0, v0
	s_waitcnt lgkmcnt(0)
	s_add_i32 s10, s12, 0x7ff
	s_lshr_b32 s14, s10, 11
	s_add_i32 s15, s13, 8
	s_add_i32 s16, s13, 16
	s_add_i32 s17, s13, 24
	s_add_u32 s18, s6, 4
	s_addc_u32 s19, s7, 0
	s_add_u32 s20, s6, 8
	s_addc_u32 s21, s7, 0
	;; [unrolled: 2-line block ×6, first 2 shown]
	s_add_u32 s30, s6, 28
	v_lshlrev_b32_e32 v4, 3, v0
	s_addc_u32 s31, s7, 0
	v_mov_b32_e32 v5, -1
	v_mov_b32_e32 v3, 0
	s_branch .LBB2_5
.LBB2_3:                                ;   in Loop: Header=BB2_5 Depth=1
	s_or_b64 exec, exec, s[10:11]
	s_mov_b64 s[10:11], 0
	s_waitcnt lgkmcnt(0)
	s_barrier
.LBB2_4:                                ;   in Loop: Header=BB2_5 Depth=1
	s_and_b64 vcc, exec, s[10:11]
	s_cbranch_vccnz .LBB2_24
.LBB2_5:                                ; =>This Inner Loop Header: Depth=1
	s_and_saveexec_b64 s[10:11], s[2:3]
	s_cbranch_execz .LBB2_7
; %bb.6:                                ;   in Loop: Header=BB2_5 Depth=1
	global_atomic_inc v2, v3, v5, s[8:9] glc
	s_waitcnt vmcnt(0)
	ds_write_b32 v3, v2 offset:4096
.LBB2_7:                                ;   in Loop: Header=BB2_5 Depth=1
	s_or_b64 exec, exec, s[10:11]
	s_waitcnt lgkmcnt(0)
	s_barrier
	ds_read_b32 v2, v3 offset:4096
	s_mov_b64 s[10:11], -1
	s_waitcnt lgkmcnt(0)
	v_cmp_le_u32_e32 vcc, s14, v2
	s_cbranch_vccnz .LBB2_4
; %bb.8:                                ;   in Loop: Header=BB2_5 Depth=1
	v_lshl_add_u32 v2, v2, 11, v4
	v_cmp_gt_u32_e32 vcc, s12, v2
	s_and_saveexec_b64 s[10:11], vcc
	s_cbranch_execz .LBB2_10
; %bb.9:                                ;   in Loop: Header=BB2_5 Depth=1
	v_lshlrev_b64 v[6:7], 2, v[2:3]
	v_mov_b32_e32 v8, s7
	v_add_co_u32_e32 v6, vcc, s6, v6
	v_addc_co_u32_e32 v7, vcc, v8, v7, vcc
	global_load_dword v6, v[6:7], off
	s_waitcnt vmcnt(0)
	v_bfe_u32 v7, v6, s13, 8
	v_bfe_u32 v8, v6, s15, 8
	;; [unrolled: 1-line block ×3, first 2 shown]
	v_lshlrev_b32_e32 v7, 2, v7
	v_bfe_u32 v6, v6, s17, 8
	v_lshlrev_b32_e32 v8, 2, v8
	v_lshlrev_b32_e32 v9, 2, v9
	ds_inc_u32 v7, v5
	ds_inc_u32 v8, v5 offset:1024
	ds_inc_u32 v9, v5 offset:2048
	v_lshlrev_b32_e32 v6, 2, v6
	ds_inc_u32 v6, v5 offset:3072
.LBB2_10:                               ;   in Loop: Header=BB2_5 Depth=1
	s_or_b64 exec, exec, s[10:11]
	v_or_b32_e32 v6, 1, v2
	v_cmp_gt_u32_e32 vcc, s12, v6
	s_and_saveexec_b64 s[10:11], vcc
	s_cbranch_execz .LBB2_12
; %bb.11:                               ;   in Loop: Header=BB2_5 Depth=1
	v_lshlrev_b64 v[6:7], 2, v[2:3]
	v_mov_b32_e32 v8, s19
	v_add_co_u32_e32 v6, vcc, s18, v6
	v_addc_co_u32_e32 v7, vcc, v8, v7, vcc
	global_load_dword v6, v[6:7], off
	s_waitcnt vmcnt(0)
	v_bfe_u32 v7, v6, s13, 8
	v_bfe_u32 v8, v6, s15, 8
	v_bfe_u32 v9, v6, s16, 8
	v_lshlrev_b32_e32 v7, 2, v7
	v_bfe_u32 v6, v6, s17, 8
	v_lshlrev_b32_e32 v8, 2, v8
	v_lshlrev_b32_e32 v9, 2, v9
	ds_inc_u32 v7, v5
	ds_inc_u32 v8, v5 offset:1024
	ds_inc_u32 v9, v5 offset:2048
	v_lshlrev_b32_e32 v6, 2, v6
	ds_inc_u32 v6, v5 offset:3072
.LBB2_12:                               ;   in Loop: Header=BB2_5 Depth=1
	s_or_b64 exec, exec, s[10:11]
	v_or_b32_e32 v6, 2, v2
	v_cmp_gt_u32_e32 vcc, s12, v6
	s_and_saveexec_b64 s[10:11], vcc
	s_cbranch_execz .LBB2_14
; %bb.13:                               ;   in Loop: Header=BB2_5 Depth=1
	v_lshlrev_b64 v[6:7], 2, v[2:3]
	v_mov_b32_e32 v8, s21
	v_add_co_u32_e32 v6, vcc, s20, v6
	v_addc_co_u32_e32 v7, vcc, v8, v7, vcc
	global_load_dword v6, v[6:7], off
	s_waitcnt vmcnt(0)
	v_bfe_u32 v7, v6, s13, 8
	v_bfe_u32 v8, v6, s15, 8
	v_bfe_u32 v9, v6, s16, 8
	v_lshlrev_b32_e32 v7, 2, v7
	v_bfe_u32 v6, v6, s17, 8
	v_lshlrev_b32_e32 v8, 2, v8
	v_lshlrev_b32_e32 v9, 2, v9
	ds_inc_u32 v7, v5
	ds_inc_u32 v8, v5 offset:1024
	ds_inc_u32 v9, v5 offset:2048
	v_lshlrev_b32_e32 v6, 2, v6
	ds_inc_u32 v6, v5 offset:3072
.LBB2_14:                               ;   in Loop: Header=BB2_5 Depth=1
	;; [unrolled: 25-line block ×6, first 2 shown]
	s_or_b64 exec, exec, s[10:11]
	v_or_b32_e32 v6, 7, v2
	v_cmp_gt_u32_e32 vcc, s12, v6
	s_and_saveexec_b64 s[10:11], vcc
	s_cbranch_execz .LBB2_3
; %bb.23:                               ;   in Loop: Header=BB2_5 Depth=1
	v_lshlrev_b64 v[6:7], 2, v[2:3]
	v_mov_b32_e32 v2, s31
	v_add_co_u32_e32 v6, vcc, s30, v6
	v_addc_co_u32_e32 v7, vcc, v2, v7, vcc
	global_load_dword v2, v[6:7], off
	s_waitcnt vmcnt(0)
	v_bfe_u32 v6, v2, s13, 8
	v_bfe_u32 v7, v2, s15, 8
	;; [unrolled: 1-line block ×3, first 2 shown]
	v_lshlrev_b32_e32 v6, 2, v6
	v_bfe_u32 v2, v2, s17, 8
	v_lshlrev_b32_e32 v7, 2, v7
	v_lshlrev_b32_e32 v8, 2, v8
	ds_inc_u32 v6, v5
	ds_inc_u32 v7, v5 offset:1024
	ds_inc_u32 v8, v5 offset:2048
	v_lshlrev_b32_e32 v2, 2, v2
	ds_inc_u32 v2, v5 offset:3072
	s_branch .LBB2_3
.LBB2_24:
	s_movk_i32 s2, 0x100
	v_cmp_gt_u32_e32 vcc, s2, v0
	v_mov_b32_e32 v2, 0
	s_and_saveexec_b64 s[2:3], vcc
	s_cbranch_execz .LBB2_26
; %bb.25:
	ds_read_b32 v2, v1
.LBB2_26:
	s_or_b64 exec, exec, s[2:3]
	s_movk_i32 s2, 0xff00
	v_add_u32_e32 v4, 0xffffff00, v0
	v_cmp_lt_u32_e64 s[2:3], s2, v4
	s_waitcnt lgkmcnt(0)
	v_mov_b32_e32 v3, v2
	s_and_saveexec_b64 s[6:7], s[2:3]
	s_cbranch_execz .LBB2_28
; %bb.27:
	v_add_u32_e32 v3, -4, v1
	ds_read_b32 v3, v3
	s_waitcnt lgkmcnt(0)
	v_add_u32_e32 v3, v3, v2
.LBB2_28:
	s_or_b64 exec, exec, s[6:7]
	s_barrier
	s_and_saveexec_b64 s[6:7], vcc
	s_cbranch_execz .LBB2_30
; %bb.29:
	ds_write_b32 v1, v3
.LBB2_30:
	s_or_b64 exec, exec, s[6:7]
	s_movk_i32 s6, 0xff01
	v_cmp_lt_u32_e64 s[6:7], s6, v4
	s_waitcnt lgkmcnt(0)
	s_barrier
	s_and_saveexec_b64 s[8:9], s[6:7]
	s_cbranch_execz .LBB2_32
; %bb.31:
	v_add_u32_e32 v5, -8, v1
	ds_read_b32 v5, v5
	s_waitcnt lgkmcnt(0)
	v_add_u32_e32 v3, v5, v3
.LBB2_32:
	s_or_b64 exec, exec, s[8:9]
	s_barrier
	s_and_saveexec_b64 s[8:9], vcc
	s_cbranch_execz .LBB2_34
; %bb.33:
	ds_write_b32 v1, v3
.LBB2_34:
	s_or_b64 exec, exec, s[8:9]
	s_movk_i32 s8, 0xff03
	v_cmp_lt_u32_e64 s[8:9], s8, v4
	s_waitcnt lgkmcnt(0)
	s_barrier
	;; [unrolled: 20-line block ×3, first 2 shown]
	s_and_saveexec_b64 s[12:13], s[10:11]
	s_cbranch_execz .LBB2_40
; %bb.39:
	v_subrev_u32_e32 v5, 32, v1
	ds_read_b32 v5, v5
	s_waitcnt lgkmcnt(0)
	v_add_u32_e32 v3, v5, v3
.LBB2_40:
	s_or_b64 exec, exec, s[12:13]
	s_barrier
	s_and_saveexec_b64 s[12:13], vcc
	s_cbranch_execz .LBB2_42
; %bb.41:
	ds_write_b32 v1, v3
.LBB2_42:
	s_or_b64 exec, exec, s[12:13]
	s_movk_i32 s12, 0xff0f
	v_cmp_lt_u32_e64 s[12:13], s12, v4
	s_waitcnt lgkmcnt(0)
	s_barrier
	s_and_saveexec_b64 s[14:15], s[12:13]
	s_cbranch_execz .LBB2_44
; %bb.43:
	v_subrev_u32_e32 v5, 64, v1
	ds_read_b32 v5, v5
	s_waitcnt lgkmcnt(0)
	v_add_u32_e32 v3, v5, v3
.LBB2_44:
	s_or_b64 exec, exec, s[14:15]
	s_barrier
	s_and_saveexec_b64 s[14:15], vcc
	s_cbranch_execz .LBB2_46
; %bb.45:
	ds_write_b32 v1, v3
.LBB2_46:
	s_or_b64 exec, exec, s[14:15]
	s_movk_i32 s14, 0xff1f
	v_cmp_lt_u32_e64 s[14:15], s14, v4
	s_waitcnt lgkmcnt(0)
	s_barrier
	s_and_saveexec_b64 s[16:17], s[14:15]
	s_cbranch_execz .LBB2_48
; %bb.47:
	v_add_u32_e32 v5, 0xffffff80, v1
	ds_read_b32 v5, v5
	s_waitcnt lgkmcnt(0)
	v_add_u32_e32 v3, v5, v3
.LBB2_48:
	s_or_b64 exec, exec, s[16:17]
	s_barrier
	s_and_saveexec_b64 s[16:17], vcc
	s_cbranch_execz .LBB2_50
; %bb.49:
	ds_write_b32 v1, v3
.LBB2_50:
	s_or_b64 exec, exec, s[16:17]
	s_movk_i32 s16, 0xff3f
	v_cmp_lt_u32_e64 s[16:17], s16, v4
	s_waitcnt lgkmcnt(0)
	s_barrier
	s_and_saveexec_b64 s[18:19], s[16:17]
	s_cbranch_execz .LBB2_52
; %bb.51:
	v_add_u32_e32 v4, 0xffffff00, v1
	ds_read_b32 v4, v4
	s_waitcnt lgkmcnt(0)
	v_add_u32_e32 v3, v4, v3
.LBB2_52:
	s_or_b64 exec, exec, s[18:19]
	s_barrier
	s_and_saveexec_b64 s[18:19], vcc
	s_cbranch_execz .LBB2_54
; %bb.53:
	ds_write_b32 v1, v3
.LBB2_54:
	s_or_b64 exec, exec, s[18:19]
	v_and_b32_e32 v0, 0x380, v0
	s_movk_i32 s18, 0x80
	v_cmp_eq_u32_e64 s[18:19], s18, v0
	s_waitcnt lgkmcnt(0)
	s_barrier
	s_and_saveexec_b64 s[20:21], s[18:19]
	s_cbranch_execz .LBB2_56
; %bb.55:
	v_add_u32_e32 v0, 0xfffffe00, v1
	ds_read_b32 v0, v0
	s_waitcnt lgkmcnt(0)
	v_add_u32_e32 v3, v0, v3
.LBB2_56:
	s_or_b64 exec, exec, s[20:21]
	s_barrier
	s_and_saveexec_b64 s[20:21], vcc
	s_cbranch_execz .LBB2_58
; %bb.57:
	ds_write_b32 v1, v3
.LBB2_58:
	s_or_b64 exec, exec, s[20:21]
	s_waitcnt lgkmcnt(0)
	s_barrier
	s_barrier
	s_and_saveexec_b64 s[20:21], vcc
	s_cbranch_execz .LBB2_60
; %bb.59:
	v_sub_u32_e32 v0, v3, v2
	ds_write_b32 v1, v0
.LBB2_60:
	s_or_b64 exec, exec, s[20:21]
	v_mov_b32_e32 v0, 0
	s_waitcnt lgkmcnt(0)
	s_barrier
	s_and_saveexec_b64 s[20:21], vcc
	s_cbranch_execz .LBB2_62
; %bb.61:
	ds_read_b32 v0, v1 offset:1024
.LBB2_62:
	s_or_b64 exec, exec, s[20:21]
	s_waitcnt lgkmcnt(0)
	v_mov_b32_e32 v2, v0
	s_and_saveexec_b64 s[20:21], s[2:3]
	s_cbranch_execz .LBB2_64
; %bb.63:
	ds_read_b32 v2, v1 offset:1020
	s_waitcnt lgkmcnt(0)
	v_add_u32_e32 v2, v2, v0
.LBB2_64:
	s_or_b64 exec, exec, s[20:21]
	s_barrier
	s_and_saveexec_b64 s[20:21], vcc
	s_cbranch_execz .LBB2_66
; %bb.65:
	ds_write_b32 v1, v2 offset:1024
.LBB2_66:
	s_or_b64 exec, exec, s[20:21]
	s_waitcnt lgkmcnt(0)
	s_barrier
	s_and_saveexec_b64 s[20:21], s[6:7]
	s_cbranch_execz .LBB2_68
; %bb.67:
	ds_read_b32 v3, v1 offset:1016
	s_waitcnt lgkmcnt(0)
	v_add_u32_e32 v2, v3, v2
.LBB2_68:
	s_or_b64 exec, exec, s[20:21]
	s_barrier
	s_and_saveexec_b64 s[20:21], vcc
	s_cbranch_execz .LBB2_70
; %bb.69:
	ds_write_b32 v1, v2 offset:1024
.LBB2_70:
	s_or_b64 exec, exec, s[20:21]
	s_waitcnt lgkmcnt(0)
	s_barrier
	;; [unrolled: 17-line block ×8, first 2 shown]
	s_barrier
	s_and_saveexec_b64 s[20:21], vcc
	s_cbranch_execz .LBB2_96
; %bb.95:
	v_sub_u32_e32 v0, v2, v0
	ds_write_b32 v1, v0 offset:1024
.LBB2_96:
	s_or_b64 exec, exec, s[20:21]
	v_mov_b32_e32 v0, 0
	s_waitcnt lgkmcnt(0)
	s_barrier
	s_and_saveexec_b64 s[20:21], vcc
	s_cbranch_execz .LBB2_98
; %bb.97:
	ds_read_b32 v0, v1 offset:2048
.LBB2_98:
	s_or_b64 exec, exec, s[20:21]
	s_waitcnt lgkmcnt(0)
	v_mov_b32_e32 v2, v0
	s_and_saveexec_b64 s[20:21], s[2:3]
	s_cbranch_execz .LBB2_100
; %bb.99:
	ds_read_b32 v2, v1 offset:2044
	s_waitcnt lgkmcnt(0)
	v_add_u32_e32 v2, v2, v0
.LBB2_100:
	s_or_b64 exec, exec, s[20:21]
	s_barrier
	s_and_saveexec_b64 s[20:21], vcc
	s_cbranch_execz .LBB2_102
; %bb.101:
	ds_write_b32 v1, v2 offset:2048
.LBB2_102:
	s_or_b64 exec, exec, s[20:21]
	s_waitcnt lgkmcnt(0)
	s_barrier
	s_and_saveexec_b64 s[20:21], s[6:7]
	s_cbranch_execz .LBB2_104
; %bb.103:
	ds_read_b32 v3, v1 offset:2040
	s_waitcnt lgkmcnt(0)
	v_add_u32_e32 v2, v3, v2
.LBB2_104:
	s_or_b64 exec, exec, s[20:21]
	s_barrier
	s_and_saveexec_b64 s[20:21], vcc
	s_cbranch_execz .LBB2_106
; %bb.105:
	ds_write_b32 v1, v2 offset:2048
.LBB2_106:
	s_or_b64 exec, exec, s[20:21]
	s_waitcnt lgkmcnt(0)
	s_barrier
	;; [unrolled: 17-line block ×8, first 2 shown]
	s_barrier
	s_and_saveexec_b64 s[20:21], vcc
	s_cbranch_execz .LBB2_132
; %bb.131:
	v_sub_u32_e32 v0, v2, v0
	ds_write_b32 v1, v0 offset:2048
.LBB2_132:
	s_or_b64 exec, exec, s[20:21]
	v_mov_b32_e32 v0, 0
	s_waitcnt lgkmcnt(0)
	s_barrier
	s_and_saveexec_b64 s[20:21], vcc
	s_cbranch_execz .LBB2_134
; %bb.133:
	ds_read_b32 v0, v1 offset:3072
.LBB2_134:
	s_or_b64 exec, exec, s[20:21]
	s_waitcnt lgkmcnt(0)
	v_mov_b32_e32 v2, v0
	s_and_saveexec_b64 s[20:21], s[2:3]
	s_cbranch_execz .LBB2_136
; %bb.135:
	ds_read_b32 v2, v1 offset:3068
	s_waitcnt lgkmcnt(0)
	v_add_u32_e32 v2, v2, v0
.LBB2_136:
	s_or_b64 exec, exec, s[20:21]
	s_barrier
	s_and_saveexec_b64 s[2:3], vcc
	s_cbranch_execz .LBB2_138
; %bb.137:
	ds_write_b32 v1, v2 offset:3072
.LBB2_138:
	s_or_b64 exec, exec, s[2:3]
	s_waitcnt lgkmcnt(0)
	s_barrier
	s_and_saveexec_b64 s[2:3], s[6:7]
	s_cbranch_execz .LBB2_140
; %bb.139:
	ds_read_b32 v3, v1 offset:3064
	s_waitcnt lgkmcnt(0)
	v_add_u32_e32 v2, v3, v2
.LBB2_140:
	s_or_b64 exec, exec, s[2:3]
	s_barrier
	s_and_saveexec_b64 s[2:3], vcc
	s_cbranch_execz .LBB2_142
; %bb.141:
	ds_write_b32 v1, v2 offset:3072
.LBB2_142:
	s_or_b64 exec, exec, s[2:3]
	s_waitcnt lgkmcnt(0)
	s_barrier
	;; [unrolled: 17-line block ×8, first 2 shown]
	s_barrier
	s_and_saveexec_b64 s[2:3], vcc
	s_cbranch_execz .LBB2_168
; %bb.167:
	v_sub_u32_e32 v0, v2, v0
	ds_write_b32 v1, v0 offset:3072
.LBB2_168:
	s_or_b64 exec, exec, s[2:3]
	s_waitcnt lgkmcnt(0)
	s_barrier
	s_and_saveexec_b64 s[2:3], s[0:1]
	s_cbranch_execz .LBB2_170
; %bb.169:
	s_load_dwordx2 s[0:1], s[4:5], 0x10
	ds_read_b32 v0, v1
	s_waitcnt lgkmcnt(0)
	global_atomic_add v1, v0, s[0:1]
	ds_read_b32 v0, v1 offset:1024
	s_waitcnt lgkmcnt(0)
	global_atomic_add v1, v0, s[0:1] offset:1024
	ds_read_b32 v0, v1 offset:2048
	s_waitcnt lgkmcnt(0)
	global_atomic_add v1, v0, s[0:1] offset:2048
	;; [unrolled: 3-line block ×3, first 2 shown]
.LBB2_170:
	s_endpgm
	.section	.rodata,"a",@progbits
	.p2align	6, 0x0
	.amdhsa_kernel GHistogram
		.amdhsa_group_segment_fixed_size 4100
		.amdhsa_private_segment_fixed_size 0
		.amdhsa_kernarg_size 40
		.amdhsa_user_sgpr_count 6
		.amdhsa_user_sgpr_private_segment_buffer 1
		.amdhsa_user_sgpr_dispatch_ptr 0
		.amdhsa_user_sgpr_queue_ptr 0
		.amdhsa_user_sgpr_kernarg_segment_ptr 1
		.amdhsa_user_sgpr_dispatch_id 0
		.amdhsa_user_sgpr_flat_scratch_init 0
		.amdhsa_user_sgpr_kernarg_preload_length 0
		.amdhsa_user_sgpr_kernarg_preload_offset 0
		.amdhsa_user_sgpr_private_segment_size 0
		.amdhsa_uses_dynamic_stack 0
		.amdhsa_system_sgpr_private_segment_wavefront_offset 0
		.amdhsa_system_sgpr_workgroup_id_x 1
		.amdhsa_system_sgpr_workgroup_id_y 0
		.amdhsa_system_sgpr_workgroup_id_z 0
		.amdhsa_system_sgpr_workgroup_info 0
		.amdhsa_system_vgpr_workitem_id 0
		.amdhsa_next_free_vgpr 10
		.amdhsa_next_free_sgpr 32
		.amdhsa_accum_offset 12
		.amdhsa_reserve_vcc 1
		.amdhsa_reserve_flat_scratch 0
		.amdhsa_float_round_mode_32 0
		.amdhsa_float_round_mode_16_64 0
		.amdhsa_float_denorm_mode_32 3
		.amdhsa_float_denorm_mode_16_64 3
		.amdhsa_dx10_clamp 1
		.amdhsa_ieee_mode 1
		.amdhsa_fp16_overflow 0
		.amdhsa_tg_split 0
		.amdhsa_exception_fp_ieee_invalid_op 0
		.amdhsa_exception_fp_denorm_src 0
		.amdhsa_exception_fp_ieee_div_zero 0
		.amdhsa_exception_fp_ieee_overflow 0
		.amdhsa_exception_fp_ieee_underflow 0
		.amdhsa_exception_fp_ieee_inexact 0
		.amdhsa_exception_int_div_zero 0
	.end_amdhsa_kernel
	.text
.Lfunc_end2:
	.size	GHistogram, .Lfunc_end2-GHistogram
                                        ; -- End function
	.section	.AMDGPU.csdata,"",@progbits
; Kernel info:
; codeLenInByte = 3792
; NumSgprs: 36
; NumVgprs: 10
; NumAgprs: 0
; TotalNumVgprs: 10
; ScratchSize: 0
; MemoryBound: 0
; FloatMode: 240
; IeeeMode: 1
; LDSByteSize: 4100 bytes/workgroup (compile time only)
; SGPRBlocks: 4
; VGPRBlocks: 1
; NumSGPRsForWavesPerEU: 36
; NumVGPRsForWavesPerEU: 10
; AccumOffset: 12
; Occupancy: 8
; WaveLimiterHint : 1
; COMPUTE_PGM_RSRC2:SCRATCH_EN: 0
; COMPUTE_PGM_RSRC2:USER_SGPR: 6
; COMPUTE_PGM_RSRC2:TRAP_HANDLER: 0
; COMPUTE_PGM_RSRC2:TGID_X_EN: 1
; COMPUTE_PGM_RSRC2:TGID_Y_EN: 0
; COMPUTE_PGM_RSRC2:TGID_Z_EN: 0
; COMPUTE_PGM_RSRC2:TIDIG_COMP_CNT: 0
; COMPUTE_PGM_RSRC3_GFX90A:ACCUM_OFFSET: 2
; COMPUTE_PGM_RSRC3_GFX90A:TG_SPLIT: 0
	.text
	.protected	OnesweepReorderKey64    ; -- Begin function OnesweepReorderKey64
	.globl	OnesweepReorderKey64
	.p2align	8
	.type	OnesweepReorderKey64,@function
OnesweepReorderKey64:                   ; @OnesweepReorderKey64
; %bb.0:
	s_load_dwordx4 s[8:11], s[4:5], 0x0
	s_load_dword s7, s[4:5], 0x10
	v_lshrrev_b32_e32 v43, 5, v0
	s_lshl_b32 s20, s6, 12
	v_and_b32_e32 v42, 31, v0
	v_lshl_or_b32 v1, v43, 9, s20
	v_or_b32_e32 v18, v1, v42
	v_lshlrev_b32_e32 v44, 1, v0
	v_mov_b32_e32 v19, 0
	s_waitcnt lgkmcnt(0)
	v_cmp_gt_u32_e32 vcc, s7, v18
	ds_write_b16 v44, v19 offset:512
	ds_write_b16 v44, v19 offset:1024
	;; [unrolled: 1-line block ×8, first 2 shown]
	s_waitcnt lgkmcnt(0)
	s_barrier
	s_waitcnt lgkmcnt(0)
                                        ; implicit-def: $vgpr2_vgpr3_vgpr4_vgpr5_vgpr6_vgpr7_vgpr8_vgpr9_vgpr10_vgpr11_vgpr12_vgpr13_vgpr14_vgpr15_vgpr16_vgpr17
	s_and_saveexec_b64 s[0:1], vcc
	s_cbranch_execz .LBB3_2
; %bb.1:
	v_lshlrev_b64 v[2:3], 2, v[18:19]
	v_mov_b32_e32 v4, s9
	v_add_co_u32_e32 v2, vcc, s8, v2
	v_addc_co_u32_e32 v3, vcc, v4, v3, vcc
	global_load_dword v2, v[2:3], off
.LBB3_2:
	s_or_b64 exec, exec, s[0:1]
	v_or_b32_e32 v19, 32, v18
	v_cmp_gt_u32_e32 vcc, s7, v19
	s_and_saveexec_b64 s[0:1], vcc
	s_cbranch_execz .LBB3_4
; %bb.3:
	v_mov_b32_e32 v19, 0
	v_lshlrev_b64 v[20:21], 2, v[18:19]
	v_mov_b32_e32 v3, s9
	v_add_co_u32_e32 v20, vcc, s8, v20
	v_addc_co_u32_e32 v21, vcc, v3, v21, vcc
	global_load_dword v3, v[20:21], off offset:128
.LBB3_4:
	s_or_b64 exec, exec, s[0:1]
	v_or_b32_e32 v19, 64, v18
	v_cmp_gt_u32_e32 vcc, s7, v19
	s_and_saveexec_b64 s[0:1], vcc
	s_cbranch_execz .LBB3_6
; %bb.5:
	v_mov_b32_e32 v19, 0
	v_lshlrev_b64 v[20:21], 2, v[18:19]
	v_mov_b32_e32 v4, s9
	v_add_co_u32_e32 v20, vcc, s8, v20
	v_addc_co_u32_e32 v21, vcc, v4, v21, vcc
	global_load_dword v4, v[20:21], off offset:256
.LBB3_6:
	;; [unrolled: 13-line block ×15, first 2 shown]
	s_or_b64 exec, exec, s[0:1]
	s_load_dwordx2 s[8:9], s[4:5], 0x30
	v_lshlrev_b32_e64 v18, v42, -1
	v_add_u32_e32 v34, v1, v42
	s_mov_b64 s[2:3], 0
	v_not_b32_e32 v35, v18
	s_waitcnt lgkmcnt(0)
	s_lshl_b32 s21, s9, 3
	s_add_i32 s21, s21, s8
	s_movk_i32 s8, 0x7f8
                                        ; implicit-def: $vgpr18
	s_branch .LBB3_34
.LBB3_33:                               ;   in Loop: Header=BB3_34 Depth=1
	s_or_b64 exec, exec, s[0:1]
	v_and_b32_e32 v37, v37, v35
	v_bcnt_u32_b32 v37, v37, 0
	v_add_u32_sdwa v36, v37, v36 dst_sel:DWORD dst_unused:UNUSED_PAD src0_sel:DWORD src1_sel:WORD_0
	s_set_gpr_idx_on s2, gpr_idx(DST)
	v_mov_b32_e32 v18, v36
	s_set_gpr_idx_off
	s_add_u32 s2, s2, 1
	s_addc_u32 s3, s3, 0
	s_cmp_eq_u32 s2, 16
	v_add_u32_e32 v34, 32, v34
	s_waitcnt lgkmcnt(0)
	s_barrier
	s_cbranch_scc1 .LBB3_36
.LBB3_34:                               ; =>This Inner Loop Header: Depth=1
	s_waitcnt vmcnt(0)
	s_set_gpr_idx_on s2, gpr_idx(SRC0)
	v_mov_b32_e32 v36, v2
	s_set_gpr_idx_off
	v_lshrrev_b32_e32 v38, s21, v36
	v_bfe_u32 v36, v36, s21, 1
	v_add_co_u32_e64 v36, s[0:1], -1, v36
	v_cndmask_b32_e64 v37, 0, 1, s[0:1]
	v_cmp_ne_u32_e64 s[0:1], 0, v37
	v_cmp_gt_u32_e32 vcc, s7, v34
	v_xor_b32_e32 v36, s0, v36
	v_bfe_u32 v37, v38, 1, 1
	v_and_b32_e32 v36, vcc_lo, v36
	v_add_co_u32_e32 v37, vcc, -1, v37
	v_cndmask_b32_e64 v39, 0, 1, vcc
	v_cmp_ne_u32_e32 vcc, 0, v39
	v_xor_b32_e32 v37, vcc_lo, v37
	v_and_b32_e32 v36, v36, v37
	v_bfe_u32 v37, v38, 2, 1
	v_add_co_u32_e32 v37, vcc, -1, v37
	v_cndmask_b32_e64 v39, 0, 1, vcc
	v_cmp_ne_u32_e32 vcc, 0, v39
	v_xor_b32_e32 v37, vcc_lo, v37
	v_and_b32_e32 v36, v36, v37
	v_bfe_u32 v37, v38, 3, 1
	;; [unrolled: 6-line block ×6, first 2 shown]
	v_add_co_u32_e32 v37, vcc, -1, v37
	v_cndmask_b32_e64 v39, 0, 1, vcc
	v_cmp_ne_u32_e32 vcc, 0, v39
	v_xor_b32_e32 v37, vcc_lo, v37
	v_and_b32_e32 v37, v36, v37
	v_lshlrev_b32_e32 v36, 3, v38
	v_and_or_b32 v36, v36, s8, v43
	v_lshlrev_b32_e32 v38, 1, v36
	ds_read_u16 v36, v38 offset:512
	v_ffbl_b32_e32 v39, v37
	v_cmp_ne_u32_e32 vcc, 0, v37
	v_cmp_eq_u32_e64 s[0:1], v39, v42
	s_and_b64 s[12:13], vcc, s[0:1]
	s_waitcnt lgkmcnt(0)
	s_barrier
	s_and_saveexec_b64 s[0:1], s[12:13]
	s_cbranch_execz .LBB3_33
; %bb.35:                               ;   in Loop: Header=BB3_34 Depth=1
	v_add_u32_e32 v38, 0x200, v38
	v_bcnt_u32_b32 v39, v37, v36
	ds_write_b16 v38, v39
	s_branch .LBB3_33
.LBB3_36:
	s_movk_i32 s0, 0x100
	v_cmp_gt_u32_e32 vcc, s0, v0
	s_barrier
	s_and_saveexec_b64 s[0:1], vcc
	s_cbranch_execz .LBB3_38
; %bb.37:
	v_lshlrev_b32_e32 v38, 4, v0
	ds_read2_b32 v[34:35], v38 offset0:130 offset1:131
	ds_read2_b32 v[36:37], v38 offset0:128 offset1:129
	s_waitcnt lgkmcnt(0)
	v_pk_add_u16 v35, v37, v35
	v_pk_add_u16 v34, v36, v34
	;; [unrolled: 1-line block ×3, first 2 shown]
	v_add_u16_sdwa v34, v34, v34 dst_sel:DWORD dst_unused:UNUSED_PAD src0_sel:DWORD src1_sel:WORD_1
	v_mad_i32_i24 v35, v0, -14, v38
	ds_write_b16 v35, v34
.LBB3_38:
	s_or_b64 exec, exec, s[0:1]
	s_load_dwordx4 s[12:15], s[4:5], 0x18
	s_load_dwordx2 s[16:17], s[4:5], 0x28
	s_cmpk_gt_u32 s6, 0x3ff
	v_cmp_eq_u32_e64 s[0:1], 0, v0
	s_cselect_b64 s[2:3], -1, 0
	s_and_b64 s[2:3], s[0:1], s[2:3]
	s_and_saveexec_b64 s[4:5], s[2:3]
	s_cbranch_execz .LBB3_43
; %bb.39:
	v_mov_b32_e32 v34, 0
	s_branch .LBB3_41
.LBB3_40:                               ;   in Loop: Header=BB3_41 Depth=1
	s_or_b64 exec, exec, s[18:19]
	s_waitcnt vmcnt(0)
	v_readfirstlane_b32 s2, v35
	s_andn2_b32 s2, s2, 31
	s_addk_i32 s2, 0x3c0
	s_cmp_le_u32 s2, s6
	s_cbranch_scc0 .LBB3_43
.LBB3_41:                               ; =>This Inner Loop Header: Depth=1
	v_mbcnt_lo_u32_b32 v35, exec_lo, 0
	v_mbcnt_hi_u32_b32 v35, exec_hi, v35
	v_cmp_eq_u32_e64 s[2:3], 0, v35
                                        ; implicit-def: $vgpr35
	s_and_saveexec_b64 s[18:19], s[2:3]
	s_cbranch_execz .LBB3_40
; %bb.42:                               ;   in Loop: Header=BB3_41 Depth=1
	s_waitcnt lgkmcnt(0)
	global_load_dword v35, v34, s[16:17] glc
	s_branch .LBB3_40
.LBB3_43:
	s_or_b64 exec, exec, s[4:5]
	s_waitcnt lgkmcnt(0)
	s_barrier
	s_and_saveexec_b64 s[18:19], vcc
	s_cbranch_execz .LBB3_51
; %bb.44:
	s_bfe_u32 s3, s6, 0x60018
	s_lshl_b32 s2, s6, 8
	s_lshl_b32 s24, s3, 24
	ds_read_u16 v45, v44
	s_and_b32 s2, s2, 0x3ff00
	s_or_b32 s3, s24, 2.0
	s_and_b32 s22, s6, 0xff0000
	s_and_b32 s25, s6, 0xff
	v_or_b32_e32 v34, s2, v0
	v_mov_b32_e32 v35, s3
	s_and_b32 s23, s6, 0xff00
	v_or_b32_e32 v35, s22, v35
	v_mov_b32_e32 v36, s25
	v_lshlrev_b32_e32 v34, 3, v34
	v_or3_b32 v39, v35, s23, v36
	v_mov_b32_e32 v37, s15
	v_add_co_u32_e64 v36, s[2:3], s14, v34
	s_waitcnt lgkmcnt(0)
	v_or3_b32 v38, v45, 0, 0
	v_mov_b32_e32 v35, 0
	v_addc_co_u32_e64 v37, s[2:3], 0, v37, s[2:3]
	v_lshl_or_b32 v34, s9, 8, v0
	flat_store_dwordx2 v[36:37], v[38:39]
	s_waitcnt vmcnt(0)
	v_lshlrev_b64 v[38:39], 2, v[34:35]
	v_mov_b32_e32 v34, s13
	v_add_co_u32_e64 v38, s[2:3], s12, v38
	v_addc_co_u32_e64 v39, s[2:3], v34, v39, s[2:3]
	global_load_dword v34, v[38:39], off
	s_mov_b32 s26, 0
	s_mov_b64 s[8:9], 0
	s_mov_b32 s27, s6
                                        ; implicit-def: $sgpr2_sgpr3
	s_branch .LBB3_46
.LBB3_45:                               ;   in Loop: Header=BB3_46 Depth=1
                                        ; implicit-def: $sgpr27
	s_and_b64 s[4:5], exec, s[2:3]
	s_or_b64 s[8:9], s[4:5], s[8:9]
	s_andn2_b64 exec, exec, s[8:9]
	s_cbranch_execz .LBB3_50
.LBB3_46:                               ; =>This Loop Header: Depth=1
                                        ;     Child Loop BB3_48 Depth 2
	s_or_b64 s[2:3], s[2:3], exec
	s_cmp_lt_i32 s27, 1
	s_cbranch_scc1 .LBB3_45
; %bb.47:                               ;   in Loop: Header=BB3_46 Depth=1
	s_add_i32 s27, s27, -1
	s_lshl_b32 s2, s27, 8
	s_and_b32 s2, s2, 0x3ff00
	v_or_b32_e32 v38, s2, v0
	s_sub_i32 s2, s6, s27
	v_lshlrev_b32_e32 v38, 3, v38
	s_cmp_eq_u32 s2, 64
	v_mov_b32_e32 v39, s15
	v_add_co_u32_e64 v38, s[2:3], s14, v38
	s_cselect_b32 s28, 2, 3
	v_addc_co_u32_e64 v39, s[2:3], 0, v39, s[2:3]
	s_mov_b64 s[12:13], 0
.LBB3_48:                               ;   Parent Loop BB3_46 Depth=1
                                        ; =>  This Inner Loop Header: Depth=2
	flat_load_dwordx2 v[40:41], v[38:39] glc
	s_waitcnt vmcnt(0) lgkmcnt(0)
	v_lshrrev_b32_e32 v46, 30, v41
	v_and_b32_e32 v41, 0x3fffffff, v41
	v_and_b32_e32 v47, s28, v46
	v_cmp_ne_u32_e64 s[2:3], 0, v47
	v_cmp_eq_u32_e64 s[4:5], s27, v41
	s_and_b64 s[2:3], s[2:3], s[4:5]
	s_and_b64 s[2:3], exec, s[2:3]
	s_or_b64 s[12:13], s[2:3], s[12:13]
	s_andn2_b64 exec, exec, s[12:13]
	s_cbranch_execnz .LBB3_48
; %bb.49:                               ;   in Loop: Header=BB3_46 Depth=1
	s_or_b64 exec, exec, s[12:13]
	v_add_u32_e32 v35, v35, v40
	v_cmp_eq_u32_e64 s[2:3], 2, v46
	s_and_b64 s[4:5], exec, s[2:3]
	s_or_b64 s[8:9], s[4:5], s[8:9]
	s_andn2_b64 exec, exec, s[8:9]
	s_cbranch_execnz .LBB3_46
.LBB3_50:
	s_or_b64 exec, exec, s[8:9]
	s_or_b32 s2, s24, 0x80000000
	v_add_u32_e32 v38, v35, v45
	v_mov_b32_e32 v39, s2
	v_or_b32_e32 v39, s22, v39
	v_or_b32_e32 v38, 0, v38
	v_mov_b32_e32 v40, s25
	v_or3_b32 v39, v39, s23, v40
	v_or3_b32 v38, v38, 0, s26
	s_waitcnt vmcnt(0)
	v_add_u32_e32 v34, v35, v34
	v_lshlrev_b32_e32 v35, 2, v0
	flat_store_dwordx2 v[36:37], v[38:39]
	s_waitcnt vmcnt(0)
	ds_write_b32 v35, v34 offset:20480
.LBB3_51:
	s_or_b64 exec, exec, s[18:19]
; %bb.52:
	s_waitcnt lgkmcnt(0)
	s_barrier
	s_and_saveexec_b64 s[2:3], s[0:1]
	s_cbranch_execz .LBB3_58
; %bb.53:
	v_mov_b32_e32 v34, 0
	s_branch .LBB3_55
.LBB3_54:                               ;   in Loop: Header=BB3_55 Depth=1
	s_or_b64 exec, exec, s[4:5]
	s_waitcnt vmcnt(0)
	v_readfirstlane_b32 s0, v35
	s_xor_b32 s0, s0, s6
	s_cmp_gt_u32 s0, 31
	s_cbranch_scc0 .LBB3_57
.LBB3_55:                               ; =>This Inner Loop Header: Depth=1
	v_mbcnt_lo_u32_b32 v35, exec_lo, 0
	v_mbcnt_hi_u32_b32 v35, exec_hi, v35
	v_cmp_eq_u32_e64 s[0:1], 0, v35
                                        ; implicit-def: $vgpr35
	s_and_saveexec_b64 s[4:5], s[0:1]
	s_cbranch_execz .LBB3_54
; %bb.56:                               ;   in Loop: Header=BB3_55 Depth=1
	global_load_dword v35, v34, s[16:17] glc
	s_branch .LBB3_54
.LBB3_57:
	s_add_i32 s0, s7, 0xfff
	s_lshr_b32 s0, s0, 12
	s_add_i32 s0, s0, -1
	v_mov_b32_e32 v34, 0
	v_mov_b32_e32 v35, s0
	global_atomic_inc v34, v35, s[16:17]
.LBB3_58:
	s_or_b64 exec, exec, s[2:3]
	s_movk_i32 s0, 0x100
	v_cmp_gt_u32_e64 s[0:1], s0, v0
	v_mov_b32_e32 v34, 0
	s_barrier
	s_and_saveexec_b64 s[2:3], s[0:1]
	s_cbranch_execz .LBB3_60
; %bb.59:
	ds_read_u16 v34, v44
.LBB3_60:
	s_or_b64 exec, exec, s[2:3]
	s_movk_i32 s2, 0xff00
	v_or_b32_e32 v36, 0xffffff00, v0
	v_cmp_lt_u32_e64 s[2:3], s2, v36
	s_waitcnt lgkmcnt(0)
	v_mov_b32_e32 v35, v34
	s_and_saveexec_b64 s[4:5], s[2:3]
	s_cbranch_execz .LBB3_62
; %bb.61:
	v_add_u32_e32 v35, -2, v44
	ds_read_u16 v35, v35
	s_waitcnt lgkmcnt(0)
	v_add_u16_e32 v35, v35, v34
.LBB3_62:
	s_or_b64 exec, exec, s[4:5]
	s_barrier
	s_and_saveexec_b64 s[2:3], s[0:1]
	s_cbranch_execz .LBB3_64
; %bb.63:
	ds_write_b16 v44, v35
.LBB3_64:
	s_or_b64 exec, exec, s[2:3]
	s_movk_i32 s2, 0xff01
	v_cmp_lt_u32_e64 s[2:3], s2, v36
	s_waitcnt lgkmcnt(0)
	s_barrier
	s_and_saveexec_b64 s[4:5], s[2:3]
	s_cbranch_execz .LBB3_66
; %bb.65:
	v_add_u32_e32 v37, -4, v44
	ds_read_u16 v37, v37
	s_waitcnt lgkmcnt(0)
	v_add_u16_e32 v35, v37, v35
.LBB3_66:
	s_or_b64 exec, exec, s[4:5]
	s_barrier
	s_and_saveexec_b64 s[2:3], s[0:1]
	s_cbranch_execz .LBB3_68
; %bb.67:
	ds_write_b16 v44, v35
.LBB3_68:
	s_or_b64 exec, exec, s[2:3]
	s_movk_i32 s2, 0xff03
	v_cmp_lt_u32_e64 s[2:3], s2, v36
	s_waitcnt lgkmcnt(0)
	s_barrier
	;; [unrolled: 20-line block ×4, first 2 shown]
	s_and_saveexec_b64 s[4:5], s[2:3]
	s_cbranch_execz .LBB3_78
; %bb.77:
	v_subrev_u32_e32 v37, 32, v44
	ds_read_u16 v37, v37
	s_waitcnt lgkmcnt(0)
	v_add_u16_e32 v35, v37, v35
.LBB3_78:
	s_or_b64 exec, exec, s[4:5]
	s_barrier
	s_and_saveexec_b64 s[2:3], s[0:1]
	s_cbranch_execz .LBB3_80
; %bb.79:
	ds_write_b16 v44, v35
.LBB3_80:
	s_or_b64 exec, exec, s[2:3]
	s_movk_i32 s2, 0xff1f
	v_cmp_lt_u32_e64 s[2:3], s2, v36
	s_waitcnt lgkmcnt(0)
	s_barrier
	s_and_saveexec_b64 s[4:5], s[2:3]
	s_cbranch_execz .LBB3_82
; %bb.81:
	v_subrev_u32_e32 v37, 64, v44
	ds_read_u16 v37, v37
	s_waitcnt lgkmcnt(0)
	v_add_u16_e32 v35, v37, v35
.LBB3_82:
	s_or_b64 exec, exec, s[4:5]
	s_barrier
	s_and_saveexec_b64 s[2:3], s[0:1]
	s_cbranch_execz .LBB3_84
; %bb.83:
	ds_write_b16 v44, v35
.LBB3_84:
	s_or_b64 exec, exec, s[2:3]
	s_movk_i32 s2, 0xff3f
	v_cmp_lt_u32_e64 s[2:3], s2, v36
	s_waitcnt lgkmcnt(0)
	s_barrier
	s_and_saveexec_b64 s[4:5], s[2:3]
	s_cbranch_execz .LBB3_86
; %bb.85:
	v_add_u32_e32 v36, 0xffffff80, v44
	ds_read_u16 v36, v36
	s_waitcnt lgkmcnt(0)
	v_add_u16_e32 v35, v36, v35
.LBB3_86:
	s_or_b64 exec, exec, s[4:5]
	s_barrier
	s_and_saveexec_b64 s[2:3], s[0:1]
	s_cbranch_execz .LBB3_88
; %bb.87:
	ds_write_b16 v44, v35
.LBB3_88:
	s_or_b64 exec, exec, s[2:3]
	v_and_b32_e32 v36, 0x80, v0
	v_cmp_ne_u32_e64 s[2:3], 0, v36
	s_waitcnt lgkmcnt(0)
	s_barrier
	s_and_saveexec_b64 s[4:5], s[2:3]
	s_cbranch_execz .LBB3_90
; %bb.89:
	v_add_u32_e32 v36, 0xffffff00, v44
	ds_read_u16 v36, v36
	s_waitcnt lgkmcnt(0)
	v_add_u16_e32 v35, v36, v35
.LBB3_90:
	s_or_b64 exec, exec, s[4:5]
	s_barrier
	s_and_saveexec_b64 s[2:3], s[0:1]
	s_cbranch_execz .LBB3_92
; %bb.91:
	ds_write_b16 v44, v35
.LBB3_92:
	s_or_b64 exec, exec, s[2:3]
	s_waitcnt lgkmcnt(0)
	s_barrier
	s_barrier
	s_and_saveexec_b64 s[2:3], s[0:1]
	s_cbranch_execz .LBB3_94
; %bb.93:
	v_sub_u16_e32 v34, v35, v34
	ds_write_b16 v44, v34
.LBB3_94:
	s_or_b64 exec, exec, s[2:3]
	v_lshlrev_b32_e32 v34, 2, v0
	s_waitcnt lgkmcnt(0)
	s_barrier
	s_and_saveexec_b64 s[0:1], vcc
	s_cbranch_execz .LBB3_96
; %bb.95:
	ds_read_u16 v35, v44
	v_lshlrev_b32_e32 v39, 2, v0
	v_mad_u32_u24 v36, v0, 14, v44
	ds_read_b32 v40, v39 offset:20480
	ds_read_u16 v41, v36 offset:512
	v_lshlrev_b32_e32 v47, 4, v0
	s_waitcnt lgkmcnt(2)
	ds_write_b16 v36, v35 offset:512
	ds_read_b96 v[36:38], v47 offset:514
	s_waitcnt lgkmcnt(3)
	v_sub_u32_sdwa v40, v40, v35 dst_sel:DWORD dst_unused:UNUSED_PAD src0_sel:DWORD src1_sel:WORD_0
	s_waitcnt lgkmcnt(2)
	v_add_u32_sdwa v35, v41, v35 dst_sel:DWORD dst_unused:UNUSED_PAD src0_sel:DWORD src1_sel:WORD_0
	ds_write_b32 v39, v40 offset:20480
	s_mov_b32 s2, 0x5040100
	s_waitcnt lgkmcnt(1)
	v_add_u32_sdwa v39, v35, v36 dst_sel:DWORD dst_unused:UNUSED_PAD src0_sel:DWORD src1_sel:WORD_0
	v_add_u32_sdwa v36, v39, v36 dst_sel:DWORD dst_unused:UNUSED_PAD src0_sel:DWORD src1_sel:WORD_1
	v_add_u32_e32 v40, v36, v37
	v_add_u16_sdwa v37, v37, v40 dst_sel:DWORD dst_unused:UNUSED_PAD src0_sel:WORD_1 src1_sel:DWORD
	v_add_u16_e32 v41, v38, v37
	v_perm_b32 v44, v39, v35, s2
	v_perm_b32 v45, v40, v36, s2
	;; [unrolled: 1-line block ×3, first 2 shown]
	v_add_u16_sdwa v35, v38, v41 dst_sel:DWORD dst_unused:UNUSED_PAD src0_sel:WORD_1 src1_sel:DWORD
	ds_write_b96 v47, v[44:46] offset:514
	ds_write_b16 v47, v35 offset:526
.LBB3_96:
	s_or_b64 exec, exec, s[0:1]
	v_lshrrev_b32_e32 v35, s21, v2
	v_lshrrev_b32_e32 v36, s21, v3
	;; [unrolled: 1-line block ×8, first 2 shown]
	v_lshlrev_b32_e32 v35, 3, v35
	s_movk_i32 s0, 0x7f8
	v_lshlrev_b32_e32 v36, 3, v36
	v_lshlrev_b32_e32 v37, 3, v37
	;; [unrolled: 1-line block ×7, first 2 shown]
	v_and_or_b32 v35, v35, s0, v43
	v_and_or_b32 v36, v36, s0, v43
	;; [unrolled: 1-line block ×8, first 2 shown]
	v_lshlrev_b32_e32 v35, 1, v35
	v_lshlrev_b32_e32 v36, 1, v36
	;; [unrolled: 1-line block ×8, first 2 shown]
	s_waitcnt lgkmcnt(0)
	s_barrier
	ds_read_u16 v35, v35 offset:512
	ds_read_u16 v36, v36 offset:512
	;; [unrolled: 1-line block ×8, first 2 shown]
	s_waitcnt lgkmcnt(7)
	v_add_u32_e32 v18, v18, v35
	s_waitcnt lgkmcnt(6)
	v_add_u32_e32 v19, v19, v36
	;; [unrolled: 2-line block ×8, first 2 shown]
	v_lshrrev_b32_e32 v35, s21, v10
	v_lshrrev_b32_e32 v36, s21, v11
	;; [unrolled: 1-line block ×8, first 2 shown]
	v_lshlrev_b32_e32 v35, 3, v35
	v_lshlrev_b32_e32 v36, 3, v36
	;; [unrolled: 1-line block ×8, first 2 shown]
	v_and_or_b32 v35, v35, s0, v43
	v_and_or_b32 v36, v36, s0, v43
	;; [unrolled: 1-line block ×8, first 2 shown]
	v_lshlrev_b32_e32 v35, 1, v35
	v_lshlrev_b32_e32 v36, 1, v36
	;; [unrolled: 1-line block ×8, first 2 shown]
	ds_read_u16 v35, v35 offset:512
	ds_read_u16 v36, v36 offset:512
	;; [unrolled: 1-line block ×8, first 2 shown]
	s_waitcnt lgkmcnt(7)
	v_add_u32_e32 v26, v26, v35
	s_waitcnt lgkmcnt(6)
	v_add_u32_e32 v27, v27, v36
	;; [unrolled: 2-line block ×8, first 2 shown]
	s_mov_b64 s[0:1], 0
	s_movk_i32 s6, 0x1df
	s_mov_b64 s[2:3], 0
	s_barrier
	s_branch .LBB3_98
.LBB3_97:                               ;   in Loop: Header=BB3_98 Depth=1
	s_or_b64 exec, exec, s[4:5]
	s_add_u32 s2, s2, 1
	v_add_u32_e32 v35, 32, v42
	s_addc_u32 s3, s3, 0
	v_cmp_lt_u32_e32 vcc, s6, v42
	s_or_b64 s[0:1], vcc, s[0:1]
	v_mov_b32_e32 v42, v35
	s_andn2_b64 exec, exec, s[0:1]
	s_cbranch_execz .LBB3_100
.LBB3_98:                               ; =>This Inner Loop Header: Depth=1
	v_add_u32_e32 v35, v1, v42
	v_cmp_gt_u32_e32 vcc, s7, v35
	s_and_saveexec_b64 s[4:5], vcc
	s_cbranch_execz .LBB3_97
; %bb.99:                               ;   in Loop: Header=BB3_98 Depth=1
	s_set_gpr_idx_on s2, gpr_idx(SRC0)
	v_mov_b32_e32 v35, v2
	v_mov_b32_e32 v36, v18
	s_set_gpr_idx_off
	v_lshlrev_b32_e32 v36, 2, v36
	ds_write_b32 v36, v35
	s_branch .LBB3_97
.LBB3_100:
	s_or_b64 exec, exec, s[0:1]
	s_mov_b64 s[0:1], 0
	v_mov_b32_e32 v3, 0
	s_movk_i32 s4, 0xeff
	s_waitcnt lgkmcnt(0)
	s_barrier
	s_branch .LBB3_102
.LBB3_101:                              ;   in Loop: Header=BB3_102 Depth=1
	s_or_b64 exec, exec, s[2:3]
	v_add_u32_e32 v1, 0x100, v0
	v_cmp_lt_u32_e32 vcc, s4, v0
	v_add_u32_e32 v34, 0x400, v34
	s_or_b64 s[0:1], vcc, s[0:1]
	v_mov_b32_e32 v0, v1
	s_andn2_b64 exec, exec, s[0:1]
	s_cbranch_execz .LBB3_104
.LBB3_102:                              ; =>This Inner Loop Header: Depth=1
	v_add_u32_e32 v1, s20, v0
	v_cmp_gt_u32_e32 vcc, s7, v1
	s_and_saveexec_b64 s[2:3], vcc
	s_cbranch_execz .LBB3_101
; %bb.103:                              ;   in Loop: Header=BB3_102 Depth=1
	ds_read_b32 v1, v34
	v_mov_b32_e32 v6, s11
	s_waitcnt lgkmcnt(0)
	v_bfe_u32 v2, v1, s21, 8
	v_lshlrev_b32_e32 v2, 2, v2
	ds_read_b32 v2, v2 offset:20480
	s_waitcnt lgkmcnt(0)
	v_add_u32_e32 v2, v0, v2
	v_lshlrev_b64 v[4:5], 2, v[2:3]
	v_add_co_u32_e32 v4, vcc, s10, v4
	v_addc_co_u32_e32 v5, vcc, v6, v5, vcc
	global_store_dword v[4:5], v1, off
	s_branch .LBB3_101
.LBB3_104:
	s_endpgm
	.section	.rodata,"a",@progbits
	.p2align	6, 0x0
	.amdhsa_kernel OnesweepReorderKey64
		.amdhsa_group_segment_fixed_size 21504
		.amdhsa_private_segment_fixed_size 0
		.amdhsa_kernarg_size 56
		.amdhsa_user_sgpr_count 6
		.amdhsa_user_sgpr_private_segment_buffer 1
		.amdhsa_user_sgpr_dispatch_ptr 0
		.amdhsa_user_sgpr_queue_ptr 0
		.amdhsa_user_sgpr_kernarg_segment_ptr 1
		.amdhsa_user_sgpr_dispatch_id 0
		.amdhsa_user_sgpr_flat_scratch_init 0
		.amdhsa_user_sgpr_kernarg_preload_length 0
		.amdhsa_user_sgpr_kernarg_preload_offset 0
		.amdhsa_user_sgpr_private_segment_size 0
		.amdhsa_uses_dynamic_stack 0
		.amdhsa_system_sgpr_private_segment_wavefront_offset 0
		.amdhsa_system_sgpr_workgroup_id_x 1
		.amdhsa_system_sgpr_workgroup_id_y 0
		.amdhsa_system_sgpr_workgroup_id_z 0
		.amdhsa_system_sgpr_workgroup_info 0
		.amdhsa_system_vgpr_workitem_id 0
		.amdhsa_next_free_vgpr 48
		.amdhsa_next_free_sgpr 29
		.amdhsa_accum_offset 48
		.amdhsa_reserve_vcc 1
		.amdhsa_reserve_flat_scratch 0
		.amdhsa_float_round_mode_32 0
		.amdhsa_float_round_mode_16_64 0
		.amdhsa_float_denorm_mode_32 3
		.amdhsa_float_denorm_mode_16_64 3
		.amdhsa_dx10_clamp 1
		.amdhsa_ieee_mode 1
		.amdhsa_fp16_overflow 0
		.amdhsa_tg_split 0
		.amdhsa_exception_fp_ieee_invalid_op 0
		.amdhsa_exception_fp_denorm_src 0
		.amdhsa_exception_fp_ieee_div_zero 0
		.amdhsa_exception_fp_ieee_overflow 0
		.amdhsa_exception_fp_ieee_underflow 0
		.amdhsa_exception_fp_ieee_inexact 0
		.amdhsa_exception_int_div_zero 0
	.end_amdhsa_kernel
	.text
.Lfunc_end3:
	.size	OnesweepReorderKey64, .Lfunc_end3-OnesweepReorderKey64
                                        ; -- End function
	.section	.AMDGPU.csdata,"",@progbits
; Kernel info:
; codeLenInByte = 4092
; NumSgprs: 33
; NumVgprs: 48
; NumAgprs: 0
; TotalNumVgprs: 48
; ScratchSize: 0
; MemoryBound: 0
; FloatMode: 240
; IeeeMode: 1
; LDSByteSize: 21504 bytes/workgroup (compile time only)
; SGPRBlocks: 4
; VGPRBlocks: 5
; NumSGPRsForWavesPerEU: 33
; NumVGPRsForWavesPerEU: 48
; AccumOffset: 48
; Occupancy: 3
; WaveLimiterHint : 0
; COMPUTE_PGM_RSRC2:SCRATCH_EN: 0
; COMPUTE_PGM_RSRC2:USER_SGPR: 6
; COMPUTE_PGM_RSRC2:TRAP_HANDLER: 0
; COMPUTE_PGM_RSRC2:TGID_X_EN: 1
; COMPUTE_PGM_RSRC2:TGID_Y_EN: 0
; COMPUTE_PGM_RSRC2:TGID_Z_EN: 0
; COMPUTE_PGM_RSRC2:TIDIG_COMP_CNT: 0
; COMPUTE_PGM_RSRC3_GFX90A:ACCUM_OFFSET: 11
; COMPUTE_PGM_RSRC3_GFX90A:TG_SPLIT: 0
	.text
	.protected	OnesweepReorderKeyPair64 ; -- Begin function OnesweepReorderKeyPair64
	.globl	OnesweepReorderKeyPair64
	.p2align	8
	.type	OnesweepReorderKeyPair64,@function
OnesweepReorderKeyPair64:               ; @OnesweepReorderKeyPair64
; %bb.0:
	s_load_dwordx8 s[8:15], s[4:5], 0x0
	s_load_dword s7, s[4:5], 0x20
	v_lshrrev_b32_e32 v43, 5, v0
	s_lshl_b32 s24, s6, 12
	v_and_b32_e32 v42, 31, v0
	v_lshl_or_b32 v1, v43, 9, s24
	v_or_b32_e32 v18, v1, v42
	v_lshlrev_b32_e32 v44, 1, v0
	v_mov_b32_e32 v19, 0
	s_waitcnt lgkmcnt(0)
	v_cmp_gt_u32_e32 vcc, s7, v18
	ds_write_b16 v44, v19 offset:512
	ds_write_b16 v44, v19 offset:1024
	;; [unrolled: 1-line block ×8, first 2 shown]
	s_waitcnt lgkmcnt(0)
	s_barrier
	s_waitcnt lgkmcnt(0)
                                        ; implicit-def: $vgpr2_vgpr3_vgpr4_vgpr5_vgpr6_vgpr7_vgpr8_vgpr9_vgpr10_vgpr11_vgpr12_vgpr13_vgpr14_vgpr15_vgpr16_vgpr17
	s_and_saveexec_b64 s[0:1], vcc
	s_cbranch_execz .LBB4_2
; %bb.1:
	v_lshlrev_b64 v[2:3], 2, v[18:19]
	v_mov_b32_e32 v4, s9
	v_add_co_u32_e32 v2, vcc, s8, v2
	v_addc_co_u32_e32 v3, vcc, v4, v3, vcc
	global_load_dword v2, v[2:3], off
.LBB4_2:
	s_or_b64 exec, exec, s[0:1]
	v_or_b32_e32 v19, 32, v18
	v_cmp_gt_u32_e32 vcc, s7, v19
	s_and_saveexec_b64 s[0:1], vcc
	s_cbranch_execz .LBB4_4
; %bb.3:
	v_mov_b32_e32 v19, 0
	v_lshlrev_b64 v[20:21], 2, v[18:19]
	v_mov_b32_e32 v3, s9
	v_add_co_u32_e32 v20, vcc, s8, v20
	v_addc_co_u32_e32 v21, vcc, v3, v21, vcc
	global_load_dword v3, v[20:21], off offset:128
.LBB4_4:
	s_or_b64 exec, exec, s[0:1]
	v_or_b32_e32 v19, 64, v18
	v_cmp_gt_u32_e32 vcc, s7, v19
	s_and_saveexec_b64 s[0:1], vcc
	s_cbranch_execz .LBB4_6
; %bb.5:
	v_mov_b32_e32 v19, 0
	v_lshlrev_b64 v[20:21], 2, v[18:19]
	v_mov_b32_e32 v4, s9
	v_add_co_u32_e32 v20, vcc, s8, v20
	v_addc_co_u32_e32 v21, vcc, v4, v21, vcc
	global_load_dword v4, v[20:21], off offset:256
.LBB4_6:
	;; [unrolled: 13-line block ×15, first 2 shown]
	s_or_b64 exec, exec, s[0:1]
	s_load_dwordx2 s[8:9], s[4:5], 0x40
	v_lshlrev_b32_e64 v18, v42, -1
	v_add_u32_e32 v34, v1, v42
	s_mov_b64 s[2:3], 0
	v_not_b32_e32 v35, v18
	s_waitcnt lgkmcnt(0)
	s_lshl_b32 s25, s9, 3
	s_add_i32 s25, s25, s8
	s_movk_i32 s8, 0x7f8
                                        ; implicit-def: $vgpr18
	s_branch .LBB4_34
.LBB4_33:                               ;   in Loop: Header=BB4_34 Depth=1
	s_or_b64 exec, exec, s[0:1]
	v_and_b32_e32 v37, v37, v35
	v_bcnt_u32_b32 v37, v37, 0
	v_add_u32_sdwa v36, v37, v36 dst_sel:DWORD dst_unused:UNUSED_PAD src0_sel:DWORD src1_sel:WORD_0
	s_set_gpr_idx_on s2, gpr_idx(DST)
	v_mov_b32_e32 v18, v36
	s_set_gpr_idx_off
	s_add_u32 s2, s2, 1
	s_addc_u32 s3, s3, 0
	s_cmp_eq_u32 s2, 16
	v_add_u32_e32 v34, 32, v34
	s_waitcnt lgkmcnt(0)
	s_barrier
	s_cbranch_scc1 .LBB4_36
.LBB4_34:                               ; =>This Inner Loop Header: Depth=1
	s_waitcnt vmcnt(0)
	s_set_gpr_idx_on s2, gpr_idx(SRC0)
	v_mov_b32_e32 v36, v2
	s_set_gpr_idx_off
	v_lshrrev_b32_e32 v38, s25, v36
	v_bfe_u32 v36, v36, s25, 1
	v_add_co_u32_e64 v36, s[0:1], -1, v36
	v_cndmask_b32_e64 v37, 0, 1, s[0:1]
	v_cmp_ne_u32_e64 s[0:1], 0, v37
	v_cmp_gt_u32_e32 vcc, s7, v34
	v_xor_b32_e32 v36, s0, v36
	v_bfe_u32 v37, v38, 1, 1
	v_and_b32_e32 v36, vcc_lo, v36
	v_add_co_u32_e32 v37, vcc, -1, v37
	v_cndmask_b32_e64 v39, 0, 1, vcc
	v_cmp_ne_u32_e32 vcc, 0, v39
	v_xor_b32_e32 v37, vcc_lo, v37
	v_and_b32_e32 v36, v36, v37
	v_bfe_u32 v37, v38, 2, 1
	v_add_co_u32_e32 v37, vcc, -1, v37
	v_cndmask_b32_e64 v39, 0, 1, vcc
	v_cmp_ne_u32_e32 vcc, 0, v39
	v_xor_b32_e32 v37, vcc_lo, v37
	v_and_b32_e32 v36, v36, v37
	v_bfe_u32 v37, v38, 3, 1
	v_add_co_u32_e32 v37, vcc, -1, v37
	v_cndmask_b32_e64 v39, 0, 1, vcc
	v_cmp_ne_u32_e32 vcc, 0, v39
	v_xor_b32_e32 v37, vcc_lo, v37
	v_and_b32_e32 v36, v36, v37
	v_bfe_u32 v37, v38, 4, 1
	v_add_co_u32_e32 v37, vcc, -1, v37
	v_cndmask_b32_e64 v39, 0, 1, vcc
	v_cmp_ne_u32_e32 vcc, 0, v39
	v_xor_b32_e32 v37, vcc_lo, v37
	v_and_b32_e32 v36, v36, v37
	v_bfe_u32 v37, v38, 5, 1
	v_add_co_u32_e32 v37, vcc, -1, v37
	v_cndmask_b32_e64 v39, 0, 1, vcc
	v_cmp_ne_u32_e32 vcc, 0, v39
	v_xor_b32_e32 v37, vcc_lo, v37
	v_and_b32_e32 v36, v36, v37
	v_bfe_u32 v37, v38, 6, 1
	v_add_co_u32_e32 v37, vcc, -1, v37
	v_cndmask_b32_e64 v39, 0, 1, vcc
	v_cmp_ne_u32_e32 vcc, 0, v39
	v_xor_b32_e32 v37, vcc_lo, v37
	v_and_b32_e32 v36, v36, v37
	v_bfe_u32 v37, v38, 7, 1
	v_add_co_u32_e32 v37, vcc, -1, v37
	v_cndmask_b32_e64 v39, 0, 1, vcc
	v_cmp_ne_u32_e32 vcc, 0, v39
	v_xor_b32_e32 v37, vcc_lo, v37
	v_and_b32_e32 v37, v36, v37
	v_lshlrev_b32_e32 v36, 3, v38
	v_and_or_b32 v36, v36, s8, v43
	v_lshlrev_b32_e32 v38, 1, v36
	ds_read_u16 v36, v38 offset:512
	v_ffbl_b32_e32 v39, v37
	v_cmp_ne_u32_e32 vcc, 0, v37
	v_cmp_eq_u32_e64 s[0:1], v39, v42
	s_and_b64 s[16:17], vcc, s[0:1]
	s_waitcnt lgkmcnt(0)
	s_barrier
	s_and_saveexec_b64 s[0:1], s[16:17]
	s_cbranch_execz .LBB4_33
; %bb.35:                               ;   in Loop: Header=BB4_34 Depth=1
	v_add_u32_e32 v38, 0x200, v38
	v_bcnt_u32_b32 v39, v37, v36
	ds_write_b16 v38, v39
	s_branch .LBB4_33
.LBB4_36:
	s_movk_i32 s0, 0x100
	v_cmp_gt_u32_e32 vcc, s0, v0
	s_barrier
	s_and_saveexec_b64 s[0:1], vcc
	s_cbranch_execz .LBB4_38
; %bb.37:
	v_lshlrev_b32_e32 v38, 4, v0
	ds_read2_b32 v[34:35], v38 offset0:130 offset1:131
	ds_read2_b32 v[36:37], v38 offset0:128 offset1:129
	s_waitcnt lgkmcnt(0)
	v_pk_add_u16 v35, v37, v35
	v_pk_add_u16 v34, v36, v34
	;; [unrolled: 1-line block ×3, first 2 shown]
	v_add_u16_sdwa v34, v34, v34 dst_sel:DWORD dst_unused:UNUSED_PAD src0_sel:DWORD src1_sel:WORD_1
	v_mad_i32_i24 v35, v0, -14, v38
	ds_write_b16 v35, v34
.LBB4_38:
	s_or_b64 exec, exec, s[0:1]
	s_load_dwordx4 s[16:19], s[4:5], 0x28
	s_load_dwordx2 s[20:21], s[4:5], 0x38
	s_cmpk_gt_u32 s6, 0x3ff
	v_cmp_eq_u32_e64 s[0:1], 0, v0
	s_cselect_b64 s[2:3], -1, 0
	s_and_b64 s[2:3], s[0:1], s[2:3]
	s_and_saveexec_b64 s[4:5], s[2:3]
	s_cbranch_execz .LBB4_43
; %bb.39:
	v_mov_b32_e32 v34, 0
	s_branch .LBB4_41
.LBB4_40:                               ;   in Loop: Header=BB4_41 Depth=1
	s_or_b64 exec, exec, s[22:23]
	s_waitcnt vmcnt(0)
	v_readfirstlane_b32 s2, v35
	s_andn2_b32 s2, s2, 31
	s_addk_i32 s2, 0x3c0
	s_cmp_le_u32 s2, s6
	s_cbranch_scc0 .LBB4_43
.LBB4_41:                               ; =>This Inner Loop Header: Depth=1
	v_mbcnt_lo_u32_b32 v35, exec_lo, 0
	v_mbcnt_hi_u32_b32 v35, exec_hi, v35
	v_cmp_eq_u32_e64 s[2:3], 0, v35
                                        ; implicit-def: $vgpr35
	s_and_saveexec_b64 s[22:23], s[2:3]
	s_cbranch_execz .LBB4_40
; %bb.42:                               ;   in Loop: Header=BB4_41 Depth=1
	s_waitcnt lgkmcnt(0)
	global_load_dword v35, v34, s[20:21] glc
	s_branch .LBB4_40
.LBB4_43:
	s_or_b64 exec, exec, s[4:5]
	s_waitcnt lgkmcnt(0)
	s_barrier
	s_and_saveexec_b64 s[22:23], vcc
	s_cbranch_execz .LBB4_51
; %bb.44:
	s_bfe_u32 s3, s6, 0x60018
	s_lshl_b32 s2, s6, 8
	s_lshl_b32 s28, s3, 24
	ds_read_u16 v45, v44
	s_and_b32 s2, s2, 0x3ff00
	s_or_b32 s3, s28, 2.0
	s_and_b32 s26, s6, 0xff0000
	s_and_b32 s29, s6, 0xff
	v_or_b32_e32 v34, s2, v0
	v_mov_b32_e32 v35, s3
	s_and_b32 s27, s6, 0xff00
	v_or_b32_e32 v35, s26, v35
	v_mov_b32_e32 v36, s29
	v_lshlrev_b32_e32 v34, 3, v34
	v_or3_b32 v39, v35, s27, v36
	v_mov_b32_e32 v37, s19
	v_add_co_u32_e64 v36, s[2:3], s18, v34
	s_waitcnt lgkmcnt(0)
	v_or3_b32 v38, v45, 0, 0
	v_mov_b32_e32 v35, 0
	v_addc_co_u32_e64 v37, s[2:3], 0, v37, s[2:3]
	v_lshl_or_b32 v34, s9, 8, v0
	flat_store_dwordx2 v[36:37], v[38:39]
	s_waitcnt vmcnt(0)
	v_lshlrev_b64 v[38:39], 2, v[34:35]
	v_mov_b32_e32 v34, s17
	v_add_co_u32_e64 v38, s[2:3], s16, v38
	v_addc_co_u32_e64 v39, s[2:3], v34, v39, s[2:3]
	global_load_dword v34, v[38:39], off
	s_mov_b32 s30, 0
	s_mov_b64 s[8:9], 0
	s_mov_b32 s31, s6
                                        ; implicit-def: $sgpr2_sgpr3
	s_branch .LBB4_46
.LBB4_45:                               ;   in Loop: Header=BB4_46 Depth=1
                                        ; implicit-def: $sgpr31
	s_and_b64 s[4:5], exec, s[2:3]
	s_or_b64 s[8:9], s[4:5], s[8:9]
	s_andn2_b64 exec, exec, s[8:9]
	s_cbranch_execz .LBB4_50
.LBB4_46:                               ; =>This Loop Header: Depth=1
                                        ;     Child Loop BB4_48 Depth 2
	s_or_b64 s[2:3], s[2:3], exec
	s_cmp_lt_i32 s31, 1
	s_cbranch_scc1 .LBB4_45
; %bb.47:                               ;   in Loop: Header=BB4_46 Depth=1
	s_add_i32 s31, s31, -1
	s_lshl_b32 s2, s31, 8
	s_and_b32 s2, s2, 0x3ff00
	v_or_b32_e32 v38, s2, v0
	s_sub_i32 s2, s6, s31
	v_lshlrev_b32_e32 v38, 3, v38
	s_cmp_eq_u32 s2, 64
	v_mov_b32_e32 v39, s19
	v_add_co_u32_e64 v38, s[2:3], s18, v38
	s_cselect_b32 s33, 2, 3
	v_addc_co_u32_e64 v39, s[2:3], 0, v39, s[2:3]
	s_mov_b64 s[16:17], 0
.LBB4_48:                               ;   Parent Loop BB4_46 Depth=1
                                        ; =>  This Inner Loop Header: Depth=2
	flat_load_dwordx2 v[40:41], v[38:39] glc
	s_waitcnt vmcnt(0) lgkmcnt(0)
	v_lshrrev_b32_e32 v46, 30, v41
	v_and_b32_e32 v41, 0x3fffffff, v41
	v_and_b32_e32 v47, s33, v46
	v_cmp_ne_u32_e64 s[2:3], 0, v47
	v_cmp_eq_u32_e64 s[4:5], s31, v41
	s_and_b64 s[2:3], s[2:3], s[4:5]
	s_and_b64 s[2:3], exec, s[2:3]
	s_or_b64 s[16:17], s[2:3], s[16:17]
	s_andn2_b64 exec, exec, s[16:17]
	s_cbranch_execnz .LBB4_48
; %bb.49:                               ;   in Loop: Header=BB4_46 Depth=1
	s_or_b64 exec, exec, s[16:17]
	v_add_u32_e32 v35, v35, v40
	v_cmp_eq_u32_e64 s[2:3], 2, v46
	s_and_b64 s[4:5], exec, s[2:3]
	s_or_b64 s[8:9], s[4:5], s[8:9]
	s_andn2_b64 exec, exec, s[8:9]
	s_cbranch_execnz .LBB4_46
.LBB4_50:
	s_or_b64 exec, exec, s[8:9]
	s_or_b32 s2, s28, 0x80000000
	v_add_u32_e32 v38, v35, v45
	v_mov_b32_e32 v39, s2
	v_or_b32_e32 v39, s26, v39
	v_or_b32_e32 v38, 0, v38
	v_mov_b32_e32 v40, s29
	v_or3_b32 v39, v39, s27, v40
	v_or3_b32 v38, v38, 0, s30
	s_waitcnt vmcnt(0)
	v_add_u32_e32 v34, v35, v34
	v_lshlrev_b32_e32 v35, 2, v0
	flat_store_dwordx2 v[36:37], v[38:39]
	s_waitcnt vmcnt(0)
	ds_write_b32 v35, v34 offset:20480
.LBB4_51:
	s_or_b64 exec, exec, s[22:23]
; %bb.52:
	s_waitcnt lgkmcnt(0)
	s_barrier
	s_and_saveexec_b64 s[2:3], s[0:1]
	s_cbranch_execz .LBB4_58
; %bb.53:
	v_mov_b32_e32 v34, 0
	s_branch .LBB4_55
.LBB4_54:                               ;   in Loop: Header=BB4_55 Depth=1
	s_or_b64 exec, exec, s[4:5]
	s_waitcnt vmcnt(0)
	v_readfirstlane_b32 s0, v35
	s_xor_b32 s0, s0, s6
	s_cmp_gt_u32 s0, 31
	s_cbranch_scc0 .LBB4_57
.LBB4_55:                               ; =>This Inner Loop Header: Depth=1
	v_mbcnt_lo_u32_b32 v35, exec_lo, 0
	v_mbcnt_hi_u32_b32 v35, exec_hi, v35
	v_cmp_eq_u32_e64 s[0:1], 0, v35
                                        ; implicit-def: $vgpr35
	s_and_saveexec_b64 s[4:5], s[0:1]
	s_cbranch_execz .LBB4_54
; %bb.56:                               ;   in Loop: Header=BB4_55 Depth=1
	global_load_dword v35, v34, s[20:21] glc
	s_branch .LBB4_54
.LBB4_57:
	s_add_i32 s0, s7, 0xfff
	s_lshr_b32 s0, s0, 12
	s_add_i32 s0, s0, -1
	v_mov_b32_e32 v34, 0
	v_mov_b32_e32 v35, s0
	global_atomic_inc v34, v35, s[20:21]
.LBB4_58:
	s_or_b64 exec, exec, s[2:3]
	s_movk_i32 s0, 0x100
	v_cmp_gt_u32_e64 s[0:1], s0, v0
	v_mov_b32_e32 v34, 0
	s_barrier
	s_and_saveexec_b64 s[2:3], s[0:1]
	s_cbranch_execz .LBB4_60
; %bb.59:
	ds_read_u16 v34, v44
.LBB4_60:
	s_or_b64 exec, exec, s[2:3]
	s_movk_i32 s2, 0xff00
	v_or_b32_e32 v36, 0xffffff00, v0
	v_cmp_lt_u32_e64 s[2:3], s2, v36
	s_waitcnt lgkmcnt(0)
	v_mov_b32_e32 v35, v34
	s_and_saveexec_b64 s[4:5], s[2:3]
	s_cbranch_execz .LBB4_62
; %bb.61:
	v_add_u32_e32 v35, -2, v44
	ds_read_u16 v35, v35
	s_waitcnt lgkmcnt(0)
	v_add_u16_e32 v35, v35, v34
.LBB4_62:
	s_or_b64 exec, exec, s[4:5]
	s_barrier
	s_and_saveexec_b64 s[2:3], s[0:1]
	s_cbranch_execz .LBB4_64
; %bb.63:
	ds_write_b16 v44, v35
.LBB4_64:
	s_or_b64 exec, exec, s[2:3]
	s_movk_i32 s2, 0xff01
	v_cmp_lt_u32_e64 s[2:3], s2, v36
	s_waitcnt lgkmcnt(0)
	s_barrier
	s_and_saveexec_b64 s[4:5], s[2:3]
	s_cbranch_execz .LBB4_66
; %bb.65:
	v_add_u32_e32 v37, -4, v44
	ds_read_u16 v37, v37
	s_waitcnt lgkmcnt(0)
	v_add_u16_e32 v35, v37, v35
.LBB4_66:
	s_or_b64 exec, exec, s[4:5]
	s_barrier
	s_and_saveexec_b64 s[2:3], s[0:1]
	s_cbranch_execz .LBB4_68
; %bb.67:
	ds_write_b16 v44, v35
.LBB4_68:
	s_or_b64 exec, exec, s[2:3]
	s_movk_i32 s2, 0xff03
	v_cmp_lt_u32_e64 s[2:3], s2, v36
	s_waitcnt lgkmcnt(0)
	s_barrier
	;; [unrolled: 20-line block ×4, first 2 shown]
	s_and_saveexec_b64 s[4:5], s[2:3]
	s_cbranch_execz .LBB4_78
; %bb.77:
	v_subrev_u32_e32 v37, 32, v44
	ds_read_u16 v37, v37
	s_waitcnt lgkmcnt(0)
	v_add_u16_e32 v35, v37, v35
.LBB4_78:
	s_or_b64 exec, exec, s[4:5]
	s_barrier
	s_and_saveexec_b64 s[2:3], s[0:1]
	s_cbranch_execz .LBB4_80
; %bb.79:
	ds_write_b16 v44, v35
.LBB4_80:
	s_or_b64 exec, exec, s[2:3]
	s_movk_i32 s2, 0xff1f
	v_cmp_lt_u32_e64 s[2:3], s2, v36
	s_waitcnt lgkmcnt(0)
	s_barrier
	s_and_saveexec_b64 s[4:5], s[2:3]
	s_cbranch_execz .LBB4_82
; %bb.81:
	v_subrev_u32_e32 v37, 64, v44
	ds_read_u16 v37, v37
	s_waitcnt lgkmcnt(0)
	v_add_u16_e32 v35, v37, v35
.LBB4_82:
	s_or_b64 exec, exec, s[4:5]
	s_barrier
	s_and_saveexec_b64 s[2:3], s[0:1]
	s_cbranch_execz .LBB4_84
; %bb.83:
	ds_write_b16 v44, v35
.LBB4_84:
	s_or_b64 exec, exec, s[2:3]
	s_movk_i32 s2, 0xff3f
	v_cmp_lt_u32_e64 s[2:3], s2, v36
	s_waitcnt lgkmcnt(0)
	s_barrier
	s_and_saveexec_b64 s[4:5], s[2:3]
	s_cbranch_execz .LBB4_86
; %bb.85:
	v_add_u32_e32 v36, 0xffffff80, v44
	ds_read_u16 v36, v36
	s_waitcnt lgkmcnt(0)
	v_add_u16_e32 v35, v36, v35
.LBB4_86:
	s_or_b64 exec, exec, s[4:5]
	s_barrier
	s_and_saveexec_b64 s[2:3], s[0:1]
	s_cbranch_execz .LBB4_88
; %bb.87:
	ds_write_b16 v44, v35
.LBB4_88:
	s_or_b64 exec, exec, s[2:3]
	v_and_b32_e32 v36, 0x80, v0
	v_cmp_ne_u32_e64 s[2:3], 0, v36
	s_waitcnt lgkmcnt(0)
	s_barrier
	s_and_saveexec_b64 s[4:5], s[2:3]
	s_cbranch_execz .LBB4_90
; %bb.89:
	v_add_u32_e32 v36, 0xffffff00, v44
	ds_read_u16 v36, v36
	s_waitcnt lgkmcnt(0)
	v_add_u16_e32 v35, v36, v35
.LBB4_90:
	s_or_b64 exec, exec, s[4:5]
	s_barrier
	s_and_saveexec_b64 s[2:3], s[0:1]
	s_cbranch_execz .LBB4_92
; %bb.91:
	ds_write_b16 v44, v35
.LBB4_92:
	s_or_b64 exec, exec, s[2:3]
	s_waitcnt lgkmcnt(0)
	s_barrier
	s_barrier
	s_and_saveexec_b64 s[2:3], s[0:1]
	s_cbranch_execz .LBB4_94
; %bb.93:
	v_sub_u16_e32 v34, v35, v34
	ds_write_b16 v44, v34
.LBB4_94:
	s_or_b64 exec, exec, s[2:3]
	v_lshlrev_b32_e32 v36, 2, v0
	s_waitcnt lgkmcnt(0)
	s_barrier
	s_and_saveexec_b64 s[0:1], vcc
	s_cbranch_execz .LBB4_96
; %bb.95:
	ds_read_u16 v34, v44
	v_lshlrev_b32_e32 v35, 2, v0
	v_mad_u32_u24 v37, v0, 14, v44
	ds_read_b32 v41, v35 offset:20480
	ds_read_u16 v44, v37 offset:512
	s_mov_b32 s2, 0x5040100
	s_waitcnt lgkmcnt(2)
	ds_write_b16 v37, v34 offset:512
	v_lshlrev_b32_e32 v37, 4, v0
	ds_read_b96 v[38:40], v37 offset:514
	s_waitcnt lgkmcnt(3)
	v_sub_u32_sdwa v41, v41, v34 dst_sel:DWORD dst_unused:UNUSED_PAD src0_sel:DWORD src1_sel:WORD_0
	s_waitcnt lgkmcnt(2)
	v_add_u32_sdwa v34, v44, v34 dst_sel:DWORD dst_unused:UNUSED_PAD src0_sel:DWORD src1_sel:WORD_0
	ds_write_b32 v35, v41 offset:20480
	s_waitcnt lgkmcnt(1)
	v_add_u32_sdwa v35, v34, v38 dst_sel:DWORD dst_unused:UNUSED_PAD src0_sel:DWORD src1_sel:WORD_0
	v_add_u32_sdwa v38, v35, v38 dst_sel:DWORD dst_unused:UNUSED_PAD src0_sel:DWORD src1_sel:WORD_1
	v_add_u32_e32 v41, v38, v39
	v_add_u16_sdwa v39, v39, v41 dst_sel:DWORD dst_unused:UNUSED_PAD src0_sel:WORD_1 src1_sel:DWORD
	v_add_u16_e32 v47, v40, v39
	v_perm_b32 v44, v35, v34, s2
	v_perm_b32 v45, v41, v38, s2
	;; [unrolled: 1-line block ×3, first 2 shown]
	v_add_u16_sdwa v34, v40, v47 dst_sel:DWORD dst_unused:UNUSED_PAD src0_sel:WORD_1 src1_sel:DWORD
	ds_write_b96 v37, v[44:46] offset:514
	ds_write_b16 v37, v34 offset:526
.LBB4_96:
	s_or_b64 exec, exec, s[0:1]
	v_lshrrev_b32_e32 v34, s25, v2
	v_lshrrev_b32_e32 v35, s25, v3
	;; [unrolled: 1-line block ×8, first 2 shown]
	v_lshlrev_b32_e32 v34, 3, v34
	s_movk_i32 s0, 0x7f8
	v_lshlrev_b32_e32 v35, 3, v35
	v_lshlrev_b32_e32 v37, 3, v37
	;; [unrolled: 1-line block ×7, first 2 shown]
	v_and_or_b32 v34, v34, s0, v43
	v_and_or_b32 v35, v35, s0, v43
	;; [unrolled: 1-line block ×8, first 2 shown]
	v_lshlrev_b32_e32 v34, 1, v34
	v_lshlrev_b32_e32 v35, 1, v35
	;; [unrolled: 1-line block ×8, first 2 shown]
	s_waitcnt lgkmcnt(0)
	s_barrier
	ds_read_u16 v34, v34 offset:512
	ds_read_u16 v35, v35 offset:512
	;; [unrolled: 1-line block ×8, first 2 shown]
	s_waitcnt lgkmcnt(7)
	v_add_u32_e32 v18, v18, v34
	s_waitcnt lgkmcnt(6)
	v_add_u32_e32 v19, v19, v35
	;; [unrolled: 2-line block ×8, first 2 shown]
	v_lshrrev_b32_e32 v34, s25, v10
	v_lshrrev_b32_e32 v35, s25, v11
	;; [unrolled: 1-line block ×8, first 2 shown]
	v_lshlrev_b32_e32 v34, 3, v34
	v_lshlrev_b32_e32 v35, 3, v35
	;; [unrolled: 1-line block ×8, first 2 shown]
	v_and_or_b32 v34, v34, s0, v43
	v_and_or_b32 v35, v35, s0, v43
	v_and_or_b32 v37, v37, s0, v43
	v_and_or_b32 v38, v38, s0, v43
	v_and_or_b32 v39, v39, s0, v43
	v_and_or_b32 v40, v40, s0, v43
	v_and_or_b32 v41, v41, s0, v43
	v_and_or_b32 v43, v44, s0, v43
	v_lshlrev_b32_e32 v34, 1, v34
	v_lshlrev_b32_e32 v35, 1, v35
	;; [unrolled: 1-line block ×8, first 2 shown]
	ds_read_u16 v34, v34 offset:512
	ds_read_u16 v35, v35 offset:512
	;; [unrolled: 1-line block ×8, first 2 shown]
	s_waitcnt lgkmcnt(7)
	v_add_u32_e32 v26, v26, v34
	s_waitcnt lgkmcnt(6)
	v_add_u32_e32 v27, v27, v35
	;; [unrolled: 2-line block ×8, first 2 shown]
	s_mov_b64 s[0:1], 0
	s_movk_i32 s6, 0x1df
	s_mov_b64 s[2:3], 0
	v_mov_b32_e32 v34, v42
	s_barrier
	s_branch .LBB4_98
.LBB4_97:                               ;   in Loop: Header=BB4_98 Depth=1
	s_or_b64 exec, exec, s[4:5]
	s_add_u32 s2, s2, 1
	v_add_u32_e32 v35, 32, v34
	s_addc_u32 s3, s3, 0
	v_cmp_lt_u32_e32 vcc, s6, v34
	s_or_b64 s[0:1], vcc, s[0:1]
	v_mov_b32_e32 v34, v35
	s_andn2_b64 exec, exec, s[0:1]
	s_cbranch_execz .LBB4_100
.LBB4_98:                               ; =>This Inner Loop Header: Depth=1
	v_add_u32_e32 v35, v1, v34
	v_cmp_gt_u32_e32 vcc, s7, v35
	s_and_saveexec_b64 s[4:5], vcc
	s_cbranch_execz .LBB4_97
; %bb.99:                               ;   in Loop: Header=BB4_98 Depth=1
	s_set_gpr_idx_on s2, gpr_idx(SRC0)
	v_mov_b32_e32 v35, v2
	v_mov_b32_e32 v37, v18
	s_set_gpr_idx_off
	v_lshlrev_b32_e32 v37, 2, v37
	ds_write_b32 v37, v35
	s_branch .LBB4_97
.LBB4_100:
	s_or_b64 exec, exec, s[0:1]
	s_mov_b64 s[0:1], 0
	v_mov_b32_e32 v35, 0
	s_movk_i32 s4, 0xeff
	v_mov_b32_e32 v37, v36
	v_mov_b32_e32 v38, v0
	s_waitcnt lgkmcnt(0)
	s_barrier
	s_branch .LBB4_102
.LBB4_101:                              ;   in Loop: Header=BB4_102 Depth=1
	s_or_b64 exec, exec, s[2:3]
	v_add_u32_e32 v34, 0x100, v38
	v_cmp_lt_u32_e32 vcc, s4, v38
	v_add_u32_e32 v37, 0x400, v37
	s_or_b64 s[0:1], vcc, s[0:1]
	v_mov_b32_e32 v38, v34
	s_andn2_b64 exec, exec, s[0:1]
	s_cbranch_execz .LBB4_104
.LBB4_102:                              ; =>This Inner Loop Header: Depth=1
	v_add_u32_e32 v34, s24, v38
	v_cmp_gt_u32_e32 vcc, s7, v34
	s_and_saveexec_b64 s[2:3], vcc
	s_cbranch_execz .LBB4_101
; %bb.103:                              ;   in Loop: Header=BB4_102 Depth=1
	ds_read_b32 v39, v37
	v_mov_b32_e32 v43, s11
	s_waitcnt lgkmcnt(0)
	v_bfe_u32 v34, v39, s25, 8
	v_lshlrev_b32_e32 v34, 2, v34
	ds_read_b32 v34, v34 offset:20480
	s_waitcnt lgkmcnt(0)
	v_add_u32_e32 v34, v38, v34
	v_lshlrev_b64 v[40:41], 2, v[34:35]
	v_add_co_u32_e32 v40, vcc, s10, v40
	v_addc_co_u32_e32 v41, vcc, v43, v41, vcc
	global_store_dword v[40:41], v39, off
	s_branch .LBB4_101
.LBB4_104:
	s_or_b64 exec, exec, s[0:1]
	s_mov_b64 s[0:1], 0
	v_mov_b32_e32 v35, 0
	s_movk_i32 s6, 0x1df
	s_mov_b64 s[2:3], 0
	s_barrier
	s_branch .LBB4_106
.LBB4_105:                              ;   in Loop: Header=BB4_106 Depth=1
	s_or_b64 exec, exec, s[4:5]
	s_add_u32 s2, s2, 1
	v_add_u32_e32 v34, 32, v42
	s_addc_u32 s3, s3, 0
	v_cmp_lt_u32_e32 vcc, s6, v42
	s_or_b64 s[0:1], vcc, s[0:1]
	v_mov_b32_e32 v42, v34
	s_andn2_b64 exec, exec, s[0:1]
	s_cbranch_execz .LBB4_108
.LBB4_106:                              ; =>This Inner Loop Header: Depth=1
	v_add_u32_e32 v34, v1, v42
	v_cmp_gt_u32_e32 vcc, s7, v34
	s_and_saveexec_b64 s[4:5], vcc
	s_cbranch_execz .LBB4_105
; %bb.107:                              ;   in Loop: Header=BB4_106 Depth=1
	v_lshlrev_b64 v[38:39], 2, v[34:35]
	v_mov_b32_e32 v34, s13
	v_add_co_u32_e32 v38, vcc, s12, v38
	s_set_gpr_idx_on s2, gpr_idx(SRC0)
	v_mov_b32_e32 v37, v18
	s_set_gpr_idx_off
	v_addc_co_u32_e32 v39, vcc, v34, v39, vcc
	s_set_gpr_idx_on s2, gpr_idx(SRC0)
	v_mov_b32_e32 v40, v2
	s_set_gpr_idx_off
	global_load_dword v34, v[38:39], off
	v_lshlrev_b32_e32 v38, 2, v37
	v_lshrrev_b32_e32 v39, s25, v40
	s_waitcnt vmcnt(0)
	ds_write_b32 v38, v34
	ds_write_b8 v37, v39 offset:16384
	s_branch .LBB4_105
.LBB4_108:
	s_or_b64 exec, exec, s[0:1]
	s_mov_b64 s[0:1], 0
	v_mov_b32_e32 v3, 0
	s_movk_i32 s4, 0xeff
	s_waitcnt lgkmcnt(0)
	s_barrier
	s_branch .LBB4_110
.LBB4_109:                              ;   in Loop: Header=BB4_110 Depth=1
	s_or_b64 exec, exec, s[2:3]
	v_add_u32_e32 v1, 0x100, v0
	v_cmp_lt_u32_e32 vcc, s4, v0
	v_add_u32_e32 v36, 0x400, v36
	s_or_b64 s[0:1], vcc, s[0:1]
	v_mov_b32_e32 v0, v1
	s_andn2_b64 exec, exec, s[0:1]
	s_cbranch_execz .LBB4_112
.LBB4_110:                              ; =>This Inner Loop Header: Depth=1
	v_add_u32_e32 v1, s24, v0
	v_cmp_gt_u32_e32 vcc, s7, v1
	s_and_saveexec_b64 s[2:3], vcc
	s_cbranch_execz .LBB4_109
; %bb.111:                              ;   in Loop: Header=BB4_110 Depth=1
	ds_read_u8 v1, v0 offset:16384
	v_mov_b32_e32 v7, s15
	s_waitcnt lgkmcnt(0)
	v_lshlrev_b32_e32 v1, 2, v1
	ds_read_b32 v1, v1 offset:20480
	ds_read_b32 v6, v36
	s_waitcnt lgkmcnt(1)
	v_add_u32_e32 v2, v0, v1
	v_lshlrev_b64 v[4:5], 2, v[2:3]
	v_add_co_u32_e32 v4, vcc, s14, v4
	v_addc_co_u32_e32 v5, vcc, v7, v5, vcc
	s_waitcnt lgkmcnt(0)
	global_store_dword v[4:5], v6, off
	s_branch .LBB4_109
.LBB4_112:
	s_endpgm
	.section	.rodata,"a",@progbits
	.p2align	6, 0x0
	.amdhsa_kernel OnesweepReorderKeyPair64
		.amdhsa_group_segment_fixed_size 21504
		.amdhsa_private_segment_fixed_size 0
		.amdhsa_kernarg_size 72
		.amdhsa_user_sgpr_count 6
		.amdhsa_user_sgpr_private_segment_buffer 1
		.amdhsa_user_sgpr_dispatch_ptr 0
		.amdhsa_user_sgpr_queue_ptr 0
		.amdhsa_user_sgpr_kernarg_segment_ptr 1
		.amdhsa_user_sgpr_dispatch_id 0
		.amdhsa_user_sgpr_flat_scratch_init 0
		.amdhsa_user_sgpr_kernarg_preload_length 0
		.amdhsa_user_sgpr_kernarg_preload_offset 0
		.amdhsa_user_sgpr_private_segment_size 0
		.amdhsa_uses_dynamic_stack 0
		.amdhsa_system_sgpr_private_segment_wavefront_offset 0
		.amdhsa_system_sgpr_workgroup_id_x 1
		.amdhsa_system_sgpr_workgroup_id_y 0
		.amdhsa_system_sgpr_workgroup_id_z 0
		.amdhsa_system_sgpr_workgroup_info 0
		.amdhsa_system_vgpr_workitem_id 0
		.amdhsa_next_free_vgpr 48
		.amdhsa_next_free_sgpr 34
		.amdhsa_accum_offset 48
		.amdhsa_reserve_vcc 1
		.amdhsa_reserve_flat_scratch 0
		.amdhsa_float_round_mode_32 0
		.amdhsa_float_round_mode_16_64 0
		.amdhsa_float_denorm_mode_32 3
		.amdhsa_float_denorm_mode_16_64 3
		.amdhsa_dx10_clamp 1
		.amdhsa_ieee_mode 1
		.amdhsa_fp16_overflow 0
		.amdhsa_tg_split 0
		.amdhsa_exception_fp_ieee_invalid_op 0
		.amdhsa_exception_fp_denorm_src 0
		.amdhsa_exception_fp_ieee_div_zero 0
		.amdhsa_exception_fp_ieee_overflow 0
		.amdhsa_exception_fp_ieee_underflow 0
		.amdhsa_exception_fp_ieee_inexact 0
		.amdhsa_exception_int_div_zero 0
	.end_amdhsa_kernel
	.text
.Lfunc_end4:
	.size	OnesweepReorderKeyPair64, .Lfunc_end4-OnesweepReorderKeyPair64
                                        ; -- End function
	.section	.AMDGPU.csdata,"",@progbits
; Kernel info:
; codeLenInByte = 4428
; NumSgprs: 38
; NumVgprs: 48
; NumAgprs: 0
; TotalNumVgprs: 48
; ScratchSize: 0
; MemoryBound: 0
; FloatMode: 240
; IeeeMode: 1
; LDSByteSize: 21504 bytes/workgroup (compile time only)
; SGPRBlocks: 4
; VGPRBlocks: 5
; NumSGPRsForWavesPerEU: 38
; NumVGPRsForWavesPerEU: 48
; AccumOffset: 48
; Occupancy: 3
; WaveLimiterHint : 0
; COMPUTE_PGM_RSRC2:SCRATCH_EN: 0
; COMPUTE_PGM_RSRC2:USER_SGPR: 6
; COMPUTE_PGM_RSRC2:TRAP_HANDLER: 0
; COMPUTE_PGM_RSRC2:TGID_X_EN: 1
; COMPUTE_PGM_RSRC2:TGID_Y_EN: 0
; COMPUTE_PGM_RSRC2:TGID_Z_EN: 0
; COMPUTE_PGM_RSRC2:TIDIG_COMP_CNT: 0
; COMPUTE_PGM_RSRC3_GFX90A:ACCUM_OFFSET: 11
; COMPUTE_PGM_RSRC3_GFX90A:TG_SPLIT: 0
	.text
	.p2alignl 6, 3212836864
	.fill 256, 4, 3212836864
	.type	__hip_cuid_b38ef6ad11ec49da,@object ; @__hip_cuid_b38ef6ad11ec49da
	.section	.bss,"aw",@nobits
	.globl	__hip_cuid_b38ef6ad11ec49da
__hip_cuid_b38ef6ad11ec49da:
	.byte	0                               ; 0x0
	.size	__hip_cuid_b38ef6ad11ec49da, 1

	.ident	"AMD clang version 19.0.0git (https://github.com/RadeonOpenCompute/llvm-project roc-6.4.0 25133 c7fe45cf4b819c5991fe208aaa96edf142730f1d)"
	.section	".note.GNU-stack","",@progbits
	.addrsig
	.addrsig_sym __hip_cuid_b38ef6ad11ec49da
	.amdgpu_metadata
---
amdhsa.kernels:
  - .agpr_count:     0
    .args:
      - .address_space:  global
        .offset:         0
        .size:           8
        .value_kind:     global_buffer
      - .address_space:  global
        .offset:         8
        .size:           8
        .value_kind:     global_buffer
      - .offset:         16
        .size:           4
        .value_kind:     by_value
      - .offset:         20
        .size:           4
        .value_kind:     by_value
      - .offset:         24
        .size:           4
        .value_kind:     by_value
    .group_segment_fixed_size: 17456
    .kernarg_segment_align: 8
    .kernarg_segment_size: 28
    .language:       OpenCL C
    .language_version:
      - 2
      - 0
    .max_flat_workgroup_size: 1024
    .name:           SortSinglePassKernel
    .private_segment_fixed_size: 32
    .sgpr_count:     84
    .sgpr_spill_count: 0
    .symbol:         SortSinglePassKernel.kd
    .uniform_work_group_size: 1
    .uses_dynamic_stack: false
    .vgpr_count:     128
    .vgpr_spill_count: 7
    .wavefront_size: 64
  - .agpr_count:     0
    .args:
      - .address_space:  global
        .offset:         0
        .size:           8
        .value_kind:     global_buffer
      - .address_space:  global
        .offset:         8
        .size:           8
        .value_kind:     global_buffer
      - .address_space:  global
        .offset:         16
        .size:           8
        .value_kind:     global_buffer
      - .address_space:  global
        .offset:         24
        .size:           8
        .value_kind:     global_buffer
      - .offset:         32
        .size:           4
        .value_kind:     by_value
      - .offset:         36
        .size:           4
        .value_kind:     by_value
      - .offset:         40
        .size:           4
        .value_kind:     by_value
    .group_segment_fixed_size: 29744
    .kernarg_segment_align: 8
    .kernarg_segment_size: 44
    .language:       OpenCL C
    .language_version:
      - 2
      - 0
    .max_flat_workgroup_size: 1024
    .name:           SortSinglePassKVKernel
    .private_segment_fixed_size: 116
    .sgpr_count:     88
    .sgpr_spill_count: 0
    .symbol:         SortSinglePassKVKernel.kd
    .uniform_work_group_size: 1
    .uses_dynamic_stack: false
    .vgpr_count:     128
    .vgpr_spill_count: 46
    .wavefront_size: 64
  - .agpr_count:     0
    .args:
      - .address_space:  global
        .offset:         0
        .size:           8
        .value_kind:     global_buffer
      - .offset:         8
        .size:           4
        .value_kind:     by_value
      - .address_space:  global
        .offset:         16
        .size:           8
        .value_kind:     global_buffer
      - .offset:         24
        .size:           4
        .value_kind:     by_value
      - .address_space:  global
        .offset:         32
        .size:           8
        .value_kind:     global_buffer
    .group_segment_fixed_size: 4100
    .kernarg_segment_align: 8
    .kernarg_segment_size: 40
    .language:       OpenCL C
    .language_version:
      - 2
      - 0
    .max_flat_workgroup_size: 1024
    .name:           GHistogram
    .private_segment_fixed_size: 0
    .sgpr_count:     36
    .sgpr_spill_count: 0
    .symbol:         GHistogram.kd
    .uniform_work_group_size: 1
    .uses_dynamic_stack: false
    .vgpr_count:     10
    .vgpr_spill_count: 0
    .wavefront_size: 64
  - .agpr_count:     0
    .args:
      - .address_space:  global
        .offset:         0
        .size:           8
        .value_kind:     global_buffer
      - .address_space:  global
        .offset:         8
        .size:           8
        .value_kind:     global_buffer
      - .offset:         16
        .size:           4
        .value_kind:     by_value
      - .address_space:  global
        .offset:         24
        .size:           8
        .value_kind:     global_buffer
      - .address_space:  global
        .offset:         32
        .size:           8
        .value_kind:     global_buffer
      - .address_space:  global
        .offset:         40
        .size:           8
        .value_kind:     global_buffer
      - .offset:         48
        .size:           4
        .value_kind:     by_value
      - .offset:         52
        .size:           4
        .value_kind:     by_value
    .group_segment_fixed_size: 21504
    .kernarg_segment_align: 8
    .kernarg_segment_size: 56
    .language:       OpenCL C
    .language_version:
      - 2
      - 0
    .max_flat_workgroup_size: 256
    .name:           OnesweepReorderKey64
    .private_segment_fixed_size: 0
    .sgpr_count:     33
    .sgpr_spill_count: 0
    .symbol:         OnesweepReorderKey64.kd
    .uniform_work_group_size: 1
    .uses_dynamic_stack: false
    .vgpr_count:     48
    .vgpr_spill_count: 0
    .wavefront_size: 64
  - .agpr_count:     0
    .args:
      - .address_space:  global
        .offset:         0
        .size:           8
        .value_kind:     global_buffer
      - .address_space:  global
        .offset:         8
        .size:           8
        .value_kind:     global_buffer
      - .address_space:  global
        .offset:         16
        .size:           8
        .value_kind:     global_buffer
      - .address_space:  global
        .offset:         24
        .size:           8
        .value_kind:     global_buffer
      - .offset:         32
        .size:           4
        .value_kind:     by_value
      - .address_space:  global
        .offset:         40
        .size:           8
        .value_kind:     global_buffer
      - .address_space:  global
        .offset:         48
        .size:           8
        .value_kind:     global_buffer
      - .address_space:  global
        .offset:         56
        .size:           8
        .value_kind:     global_buffer
      - .offset:         64
        .size:           4
        .value_kind:     by_value
      - .offset:         68
        .size:           4
        .value_kind:     by_value
    .group_segment_fixed_size: 21504
    .kernarg_segment_align: 8
    .kernarg_segment_size: 72
    .language:       OpenCL C
    .language_version:
      - 2
      - 0
    .max_flat_workgroup_size: 256
    .name:           OnesweepReorderKeyPair64
    .private_segment_fixed_size: 0
    .sgpr_count:     38
    .sgpr_spill_count: 0
    .symbol:         OnesweepReorderKeyPair64.kd
    .uniform_work_group_size: 1
    .uses_dynamic_stack: false
    .vgpr_count:     48
    .vgpr_spill_count: 0
    .wavefront_size: 64
amdhsa.target:   amdgcn-amd-amdhsa--gfx90a
amdhsa.version:
  - 1
  - 2
...

	.end_amdgpu_metadata
